;; amdgpu-corpus repo=zjin-lcf/HeCBench kind=compiled arch=gfx1201 opt=O3
	.amdgcn_target "amdgcn-amd-amdhsa--gfx1201"
	.amdhsa_code_object_version 6
	.text
	.protected	_Z26compute_haversine_distancePK15HIP_vector_typeIdLj4EEPdi ; -- Begin function _Z26compute_haversine_distancePK15HIP_vector_typeIdLj4EEPdi
	.globl	_Z26compute_haversine_distancePK15HIP_vector_typeIdLj4EEPdi
	.p2align	8
	.type	_Z26compute_haversine_distancePK15HIP_vector_typeIdLj4EEPdi,@function
_Z26compute_haversine_distancePK15HIP_vector_typeIdLj4EEPdi: ; @_Z26compute_haversine_distancePK15HIP_vector_typeIdLj4EEPdi
; %bb.0:
	s_clause 0x1
	s_load_b32 s2, s[0:1], 0x24
	s_load_b32 s3, s[0:1], 0x10
	s_wait_kmcnt 0x0
	s_and_b32 s2, s2, 0xffff
	s_delay_alu instid0(SALU_CYCLE_1)
	v_mad_co_u64_u32 v[8:9], null, ttmp9, s2, v[0:1]
	s_mov_b32 s2, exec_lo
	v_cmpx_gt_i32_e64 s3, v8
	s_cbranch_execz .LBB0_28
; %bb.1:
	s_load_b64 s[2:3], s[0:1], 0x0
	v_ashrrev_i32_e32 v9, 31, v8
	s_mov_b32 s5, 0x400921fb
	s_mov_b32 s4, 0x54442d18
                                        ; implicit-def: $vgpr34
	s_delay_alu instid0(VALU_DEP_1) | instskip(SKIP_1) | instid1(VALU_DEP_1)
	v_lshlrev_b64_e32 v[0:1], 5, v[8:9]
	s_wait_kmcnt 0x0
	v_add_co_u32 v0, vcc_lo, s2, v0
	s_delay_alu instid0(VALU_DEP_1)
	v_add_co_ci_u32_e64 v1, null, s3, v1, vcc_lo
	s_clause 0x1
	global_load_b128 v[4:7], v[0:1], off
	global_load_b128 v[0:3], v[0:1], off offset:16
	s_wait_loadcnt 0x1
	v_mul_f64_e32 v[4:5], s[4:5], v[4:5]
	s_wait_loadcnt 0x0
	v_mul_f64_e32 v[0:1], s[4:5], v[0:1]
	s_delay_alu instid0(VALU_DEP_2) | instskip(NEXT) | instid1(VALU_DEP_2)
	v_div_scale_f64 v[10:11], null, 0x40668000, 0x40668000, v[4:5]
	v_div_scale_f64 v[12:13], null, 0x40668000, 0x40668000, v[0:1]
	v_div_scale_f64 v[22:23], vcc_lo, v[4:5], 0x40668000, v[4:5]
	s_delay_alu instid0(VALU_DEP_3) | instskip(NEXT) | instid1(VALU_DEP_2)
	v_rcp_f64_e32 v[14:15], v[10:11]
	v_rcp_f64_e32 v[16:17], v[12:13]
	s_delay_alu instid0(TRANS32_DEP_2) | instskip(NEXT) | instid1(TRANS32_DEP_1)
	v_fma_f64 v[18:19], -v[10:11], v[14:15], 1.0
	v_fma_f64 v[20:21], -v[12:13], v[16:17], 1.0
	s_delay_alu instid0(VALU_DEP_2) | instskip(NEXT) | instid1(VALU_DEP_2)
	v_fma_f64 v[14:15], v[14:15], v[18:19], v[14:15]
	v_fma_f64 v[16:17], v[16:17], v[20:21], v[16:17]
	s_delay_alu instid0(VALU_DEP_2) | instskip(NEXT) | instid1(VALU_DEP_2)
	v_fma_f64 v[18:19], -v[10:11], v[14:15], 1.0
	v_fma_f64 v[20:21], -v[12:13], v[16:17], 1.0
	s_delay_alu instid0(VALU_DEP_2) | instskip(SKIP_1) | instid1(VALU_DEP_3)
	v_fma_f64 v[14:15], v[14:15], v[18:19], v[14:15]
	v_div_scale_f64 v[18:19], s2, v[0:1], 0x40668000, v[0:1]
	v_fma_f64 v[16:17], v[16:17], v[20:21], v[16:17]
	s_delay_alu instid0(VALU_DEP_3) | instskip(NEXT) | instid1(VALU_DEP_2)
	v_mul_f64_e32 v[20:21], v[22:23], v[14:15]
	v_mul_f64_e32 v[24:25], v[18:19], v[16:17]
	s_delay_alu instid0(VALU_DEP_2) | instskip(NEXT) | instid1(VALU_DEP_2)
	v_fma_f64 v[10:11], -v[10:11], v[20:21], v[22:23]
	v_fma_f64 v[12:13], -v[12:13], v[24:25], v[18:19]
	s_wait_alu 0xfffd
	s_delay_alu instid0(VALU_DEP_2) | instskip(SKIP_2) | instid1(VALU_DEP_2)
	v_div_fmas_f64 v[10:11], v[10:11], v[14:15], v[20:21]
	s_mov_b32 vcc_lo, s2
                                        ; implicit-def: $vgpr14_vgpr15
	s_wait_alu 0xfffe
	v_div_fmas_f64 v[12:13], v[12:13], v[16:17], v[24:25]
	s_delay_alu instid0(VALU_DEP_2) | instskip(NEXT) | instid1(VALU_DEP_2)
	v_div_fixup_f64 v[10:11], v[10:11], 0x40668000, v[4:5]
	v_div_fixup_f64 v[4:5], v[12:13], 0x40668000, v[0:1]
                                        ; implicit-def: $vgpr12_vgpr13
	s_delay_alu instid0(VALU_DEP_1) | instskip(NEXT) | instid1(VALU_DEP_1)
	v_add_f64_e64 v[0:1], v[4:5], -v[10:11]
	v_mul_f64_e32 v[0:1], 0.5, v[0:1]
	s_delay_alu instid0(VALU_DEP_1)
	v_cmp_ngt_f64_e64 s2, 0x41d00000, |v[0:1]|
	v_trig_preop_f64 v[24:25], |v[0:1]|, 0
	v_trig_preop_f64 v[22:23], |v[0:1]|, 1
	v_ldexp_f64 v[26:27], |v[0:1]|, 0xffffff80
	v_trig_preop_f64 v[20:21], |v[0:1]|, 2
	v_and_b32_e32 v28, 0x7fffffff, v1
	s_and_saveexec_b32 s3, s2
	s_wait_alu 0xfffe
	s_xor_b32 s3, exec_lo, s3
	s_cbranch_execz .LBB0_3
; %bb.2:
	v_cmp_le_f64_e64 vcc_lo, 0x7b000000, |v[0:1]|
	v_mov_b32_e32 v41, 0
	s_mov_b32 s5, 0x3ff921fb
	s_mov_b32 s6, 0x33145c07
	;; [unrolled: 1-line block ×3, first 2 shown]
	s_wait_alu 0xfffd
	v_cndmask_b32_e32 v13, v28, v27, vcc_lo
	v_cndmask_b32_e32 v12, v0, v26, vcc_lo
	s_delay_alu instid0(VALU_DEP_1) | instskip(SKIP_1) | instid1(VALU_DEP_2)
	v_mul_f64_e32 v[14:15], v[24:25], v[12:13]
	v_mul_f64_e32 v[16:17], v[22:23], v[12:13]
	v_fma_f64 v[18:19], v[24:25], v[12:13], -v[14:15]
	s_delay_alu instid0(VALU_DEP_2) | instskip(NEXT) | instid1(VALU_DEP_2)
	v_fma_f64 v[39:40], v[22:23], v[12:13], -v[16:17]
	v_add_f64_e32 v[29:30], v[16:17], v[18:19]
	s_delay_alu instid0(VALU_DEP_1) | instskip(SKIP_1) | instid1(VALU_DEP_2)
	v_add_f64_e64 v[31:32], v[29:30], -v[16:17]
	v_add_f64_e32 v[35:36], v[14:15], v[29:30]
	v_add_f64_e64 v[33:34], v[29:30], -v[31:32]
	v_add_f64_e64 v[18:19], v[18:19], -v[31:32]
	s_delay_alu instid0(VALU_DEP_3) | instskip(SKIP_1) | instid1(VALU_DEP_4)
	v_ldexp_f64 v[31:32], v[35:36], -2
	v_add_f64_e64 v[14:15], v[35:36], -v[14:15]
	v_add_f64_e64 v[16:17], v[16:17], -v[33:34]
	s_delay_alu instid0(VALU_DEP_3) | instskip(NEXT) | instid1(VALU_DEP_3)
	v_cmp_neq_f64_e64 vcc_lo, 0x7ff00000, |v[31:32]|
	v_add_f64_e64 v[14:15], v[29:30], -v[14:15]
	s_delay_alu instid0(VALU_DEP_3) | instskip(SKIP_1) | instid1(VALU_DEP_1)
	v_add_f64_e32 v[16:17], v[18:19], v[16:17]
	v_fract_f64_e32 v[18:19], v[31:32]
	v_ldexp_f64 v[18:19], v[18:19], 2
	s_wait_alu 0xfffd
	s_delay_alu instid0(VALU_DEP_1) | instskip(SKIP_1) | instid1(VALU_DEP_1)
	v_dual_cndmask_b32 v19, 0, v19 :: v_dual_cndmask_b32 v18, 0, v18
	v_mul_f64_e32 v[37:38], v[20:21], v[12:13]
	v_add_f64_e32 v[33:34], v[37:38], v[39:40]
	v_fma_f64 v[12:13], v[20:21], v[12:13], -v[37:38]
	s_delay_alu instid0(VALU_DEP_2) | instskip(NEXT) | instid1(VALU_DEP_1)
	v_add_f64_e32 v[29:30], v[33:34], v[16:17]
	v_add_f64_e32 v[31:32], v[14:15], v[29:30]
	s_delay_alu instid0(VALU_DEP_1) | instskip(SKIP_1) | instid1(VALU_DEP_2)
	v_add_f64_e32 v[35:36], v[31:32], v[18:19]
	v_add_f64_e64 v[14:15], v[31:32], -v[14:15]
	v_cmp_gt_f64_e32 vcc_lo, 0, v[35:36]
	v_add_f64_e64 v[35:36], v[33:34], -v[37:38]
	s_delay_alu instid0(VALU_DEP_3) | instskip(SKIP_2) | instid1(VALU_DEP_3)
	v_add_f64_e64 v[14:15], v[29:30], -v[14:15]
	s_wait_alu 0xfffd
	v_cndmask_b32_e64 v42, 0, 0x40100000, vcc_lo
	v_add_f64_e64 v[46:47], v[33:34], -v[35:36]
	v_add_f64_e64 v[35:36], v[39:40], -v[35:36]
	s_delay_alu instid0(VALU_DEP_3) | instskip(SKIP_1) | instid1(VALU_DEP_4)
	v_add_f64_e32 v[18:19], v[18:19], v[41:42]
	v_add_f64_e64 v[42:43], v[29:30], -v[33:34]
	v_add_f64_e64 v[39:40], v[37:38], -v[46:47]
	s_delay_alu instid0(VALU_DEP_3) | instskip(NEXT) | instid1(VALU_DEP_3)
	v_add_f64_e32 v[44:45], v[31:32], v[18:19]
	v_add_f64_e64 v[48:49], v[29:30], -v[42:43]
	v_add_f64_e64 v[16:17], v[16:17], -v[42:43]
	s_delay_alu instid0(VALU_DEP_4) | instskip(NEXT) | instid1(VALU_DEP_4)
	v_add_f64_e32 v[35:36], v[35:36], v[39:40]
	v_cvt_i32_f64_e32 v44, v[44:45]
	s_delay_alu instid0(VALU_DEP_4) | instskip(NEXT) | instid1(VALU_DEP_2)
	v_add_f64_e64 v[33:34], v[33:34], -v[48:49]
	v_cvt_f64_i32_e32 v[42:43], v44
	s_delay_alu instid0(VALU_DEP_2) | instskip(NEXT) | instid1(VALU_DEP_2)
	v_add_f64_e32 v[16:17], v[16:17], v[33:34]
	v_add_f64_e64 v[18:19], v[18:19], -v[42:43]
	s_delay_alu instid0(VALU_DEP_2) | instskip(NEXT) | instid1(VALU_DEP_2)
	v_add_f64_e32 v[16:17], v[35:36], v[16:17]
	v_add_f64_e32 v[35:36], v[31:32], v[18:19]
	s_delay_alu instid0(VALU_DEP_2) | instskip(NEXT) | instid1(VALU_DEP_2)
	v_add_f64_e32 v[12:13], v[12:13], v[16:17]
	v_add_f64_e64 v[16:17], v[35:36], -v[18:19]
	v_cmp_le_f64_e32 vcc_lo, 0.5, v[35:36]
	s_delay_alu instid0(VALU_DEP_3) | instskip(NEXT) | instid1(VALU_DEP_3)
	v_add_f64_e32 v[12:13], v[14:15], v[12:13]
	v_add_f64_e64 v[14:15], v[31:32], -v[16:17]
	s_wait_alu 0xfffd
	v_cndmask_b32_e64 v42, 0, 0x3ff00000, vcc_lo
	v_add_co_ci_u32_e64 v34, null, 0, v44, vcc_lo
	s_delay_alu instid0(VALU_DEP_3) | instskip(NEXT) | instid1(VALU_DEP_3)
	v_add_f64_e32 v[12:13], v[12:13], v[14:15]
	v_add_f64_e64 v[14:15], v[35:36], -v[41:42]
	s_delay_alu instid0(VALU_DEP_1) | instskip(SKIP_1) | instid1(VALU_DEP_1)
	v_add_f64_e32 v[16:17], v[14:15], v[12:13]
	s_wait_alu 0xfffe
	v_mul_f64_e32 v[18:19], s[4:5], v[16:17]
	v_add_f64_e64 v[14:15], v[16:17], -v[14:15]
	s_delay_alu instid0(VALU_DEP_2) | instskip(NEXT) | instid1(VALU_DEP_2)
	v_fma_f64 v[29:30], v[16:17], s[4:5], -v[18:19]
	v_add_f64_e64 v[12:13], v[12:13], -v[14:15]
	s_delay_alu instid0(VALU_DEP_2) | instskip(NEXT) | instid1(VALU_DEP_1)
	v_fma_f64 v[14:15], v[16:17], s[6:7], v[29:30]
	v_fma_f64 v[14:15], v[12:13], s[4:5], v[14:15]
	s_delay_alu instid0(VALU_DEP_1) | instskip(NEXT) | instid1(VALU_DEP_1)
	v_add_f64_e32 v[12:13], v[18:19], v[14:15]
	v_add_f64_e64 v[16:17], v[12:13], -v[18:19]
	s_delay_alu instid0(VALU_DEP_1)
	v_add_f64_e64 v[14:15], v[14:15], -v[16:17]
	s_and_not1_saveexec_b32 s3, s3
	s_cbranch_execz .LBB0_5
	s_branch .LBB0_4
.LBB0_3:
	s_wait_alu 0xfffe
	s_and_not1_saveexec_b32 s3, s3
	s_cbranch_execz .LBB0_5
.LBB0_4:
	s_mov_b32 s4, 0x6dc9c883
	s_mov_b32 s5, 0x3fe45f30
	;; [unrolled: 1-line block ×3, first 2 shown]
	s_wait_alu 0xfffe
	v_mul_f64_e64 v[12:13], |v[0:1]|, s[4:5]
	s_mov_b32 s4, 0x54442d18
	s_mov_b32 s5, 0xbff921fb
	;; [unrolled: 1-line block ×3, first 2 shown]
	s_delay_alu instid0(VALU_DEP_1) | instskip(SKIP_1) | instid1(VALU_DEP_1)
	v_rndne_f64_e32 v[16:17], v[12:13]
	s_wait_alu 0xfffe
	v_fma_f64 v[12:13], v[16:17], s[4:5], |v[0:1]|
	v_mul_f64_e32 v[14:15], s[6:7], v[16:17]
	s_mov_b32 s4, 0x252049c0
	s_mov_b32 s5, 0xb97b839a
	v_cvt_i32_f64_e32 v34, v[16:17]
	s_delay_alu instid0(VALU_DEP_3) | instskip(NEXT) | instid1(VALU_DEP_3)
	v_fma_f64 v[29:30], v[16:17], s[6:7], v[12:13]
	v_add_f64_e32 v[18:19], v[12:13], v[14:15]
	s_mov_b32 s7, 0x3c91a626
	s_delay_alu instid0(VALU_DEP_1) | instskip(NEXT) | instid1(VALU_DEP_3)
	v_add_f64_e64 v[12:13], v[12:13], -v[18:19]
	v_add_f64_e64 v[18:19], v[18:19], -v[29:30]
	s_delay_alu instid0(VALU_DEP_2) | instskip(SKIP_2) | instid1(VALU_DEP_2)
	v_add_f64_e32 v[12:13], v[12:13], v[14:15]
	s_wait_alu 0xfffe
	v_fma_f64 v[14:15], v[16:17], s[6:7], v[14:15]
	v_add_f64_e32 v[12:13], v[18:19], v[12:13]
	s_delay_alu instid0(VALU_DEP_1) | instskip(NEXT) | instid1(VALU_DEP_1)
	v_add_f64_e64 v[12:13], v[12:13], -v[14:15]
	v_fma_f64 v[14:15], v[16:17], s[4:5], v[12:13]
	s_delay_alu instid0(VALU_DEP_1) | instskip(NEXT) | instid1(VALU_DEP_1)
	v_add_f64_e32 v[12:13], v[29:30], v[14:15]
	v_add_f64_e64 v[18:19], v[12:13], -v[29:30]
	s_delay_alu instid0(VALU_DEP_1)
	v_add_f64_e64 v[14:15], v[14:15], -v[18:19]
.LBB0_5:
	s_wait_alu 0xfffe
	s_or_b32 exec_lo, exec_lo, s3
                                        ; implicit-def: $vgpr35
                                        ; implicit-def: $vgpr16_vgpr17
                                        ; implicit-def: $vgpr18_vgpr19
	s_and_saveexec_b32 s3, s2
	s_wait_alu 0xfffe
	s_xor_b32 s2, exec_lo, s3
	s_cbranch_execz .LBB0_7
; %bb.6:
	v_cmp_le_f64_e64 vcc_lo, 0x7b000000, |v[0:1]|
	v_mov_b32_e32 v39, 0
	s_mov_b32 s4, 0x54442d18
	s_mov_b32 s5, 0x3ff921fb
	;; [unrolled: 1-line block ×4, first 2 shown]
	s_wait_alu 0xfffd
	v_cndmask_b32_e32 v17, v28, v27, vcc_lo
	v_cndmask_b32_e32 v16, v0, v26, vcc_lo
	s_delay_alu instid0(VALU_DEP_1) | instskip(SKIP_1) | instid1(VALU_DEP_2)
	v_mul_f64_e32 v[18:19], v[24:25], v[16:17]
	v_mul_f64_e32 v[26:27], v[22:23], v[16:17]
	v_fma_f64 v[24:25], v[24:25], v[16:17], -v[18:19]
	s_delay_alu instid0(VALU_DEP_2) | instskip(NEXT) | instid1(VALU_DEP_2)
	v_fma_f64 v[22:23], v[22:23], v[16:17], -v[26:27]
	v_add_f64_e32 v[28:29], v[26:27], v[24:25]
	s_delay_alu instid0(VALU_DEP_1) | instskip(SKIP_1) | instid1(VALU_DEP_2)
	v_add_f64_e64 v[30:31], v[28:29], -v[26:27]
	v_add_f64_e32 v[35:36], v[18:19], v[28:29]
	v_add_f64_e64 v[32:33], v[28:29], -v[30:31]
	v_add_f64_e64 v[24:25], v[24:25], -v[30:31]
	s_delay_alu instid0(VALU_DEP_3) | instskip(SKIP_1) | instid1(VALU_DEP_4)
	v_ldexp_f64 v[30:31], v[35:36], -2
	v_add_f64_e64 v[18:19], v[35:36], -v[18:19]
	v_add_f64_e64 v[26:27], v[26:27], -v[32:33]
	s_delay_alu instid0(VALU_DEP_3) | instskip(NEXT) | instid1(VALU_DEP_3)
	v_cmp_neq_f64_e64 vcc_lo, 0x7ff00000, |v[30:31]|
	v_add_f64_e64 v[18:19], v[28:29], -v[18:19]
	s_delay_alu instid0(VALU_DEP_3) | instskip(SKIP_1) | instid1(VALU_DEP_1)
	v_add_f64_e32 v[24:25], v[24:25], v[26:27]
	v_fract_f64_e32 v[26:27], v[30:31]
	v_ldexp_f64 v[26:27], v[26:27], 2
	s_wait_alu 0xfffd
	s_delay_alu instid0(VALU_DEP_1) | instskip(SKIP_1) | instid1(VALU_DEP_1)
	v_dual_cndmask_b32 v27, 0, v27 :: v_dual_cndmask_b32 v26, 0, v26
	v_mul_f64_e32 v[37:38], v[20:21], v[16:17]
	v_add_f64_e32 v[32:33], v[37:38], v[22:23]
	v_fma_f64 v[16:17], v[20:21], v[16:17], -v[37:38]
	s_delay_alu instid0(VALU_DEP_2) | instskip(NEXT) | instid1(VALU_DEP_1)
	v_add_f64_e32 v[28:29], v[32:33], v[24:25]
	v_add_f64_e32 v[30:31], v[18:19], v[28:29]
	s_delay_alu instid0(VALU_DEP_1) | instskip(SKIP_1) | instid1(VALU_DEP_2)
	v_add_f64_e32 v[35:36], v[30:31], v[26:27]
	v_add_f64_e64 v[18:19], v[30:31], -v[18:19]
	v_cmp_gt_f64_e32 vcc_lo, 0, v[35:36]
	v_add_f64_e64 v[35:36], v[32:33], -v[37:38]
	s_delay_alu instid0(VALU_DEP_3) | instskip(SKIP_2) | instid1(VALU_DEP_3)
	v_add_f64_e64 v[18:19], v[28:29], -v[18:19]
	s_wait_alu 0xfffd
	v_cndmask_b32_e64 v40, 0, 0x40100000, vcc_lo
	v_add_f64_e64 v[44:45], v[32:33], -v[35:36]
	v_add_f64_e64 v[22:23], v[22:23], -v[35:36]
	s_delay_alu instid0(VALU_DEP_3) | instskip(SKIP_1) | instid1(VALU_DEP_4)
	v_add_f64_e32 v[26:27], v[26:27], v[39:40]
	v_add_f64_e64 v[40:41], v[28:29], -v[32:33]
	v_add_f64_e64 v[35:36], v[37:38], -v[44:45]
	s_delay_alu instid0(VALU_DEP_3) | instskip(NEXT) | instid1(VALU_DEP_3)
	v_add_f64_e32 v[42:43], v[30:31], v[26:27]
	v_add_f64_e64 v[46:47], v[28:29], -v[40:41]
	v_add_f64_e64 v[24:25], v[24:25], -v[40:41]
	s_delay_alu instid0(VALU_DEP_4) | instskip(NEXT) | instid1(VALU_DEP_4)
	v_add_f64_e32 v[22:23], v[22:23], v[35:36]
	v_cvt_i32_f64_e32 v42, v[42:43]
	s_delay_alu instid0(VALU_DEP_4) | instskip(NEXT) | instid1(VALU_DEP_2)
	v_add_f64_e64 v[32:33], v[32:33], -v[46:47]
	v_cvt_f64_i32_e32 v[40:41], v42
	s_delay_alu instid0(VALU_DEP_2) | instskip(NEXT) | instid1(VALU_DEP_2)
	v_add_f64_e32 v[24:25], v[24:25], v[32:33]
	v_add_f64_e64 v[26:27], v[26:27], -v[40:41]
	s_delay_alu instid0(VALU_DEP_2) | instskip(NEXT) | instid1(VALU_DEP_2)
	v_add_f64_e32 v[20:21], v[22:23], v[24:25]
	v_add_f64_e32 v[22:23], v[30:31], v[26:27]
	s_delay_alu instid0(VALU_DEP_2) | instskip(NEXT) | instid1(VALU_DEP_2)
	v_add_f64_e32 v[16:17], v[16:17], v[20:21]
	v_add_f64_e64 v[20:21], v[22:23], -v[26:27]
	v_cmp_le_f64_e32 vcc_lo, 0.5, v[22:23]
	s_delay_alu instid0(VALU_DEP_3) | instskip(NEXT) | instid1(VALU_DEP_3)
	v_add_f64_e32 v[16:17], v[18:19], v[16:17]
	v_add_f64_e64 v[18:19], v[30:31], -v[20:21]
	s_wait_alu 0xfffd
	v_cndmask_b32_e64 v40, 0, 0x3ff00000, vcc_lo
	v_add_co_ci_u32_e64 v35, null, 0, v42, vcc_lo
	s_delay_alu instid0(VALU_DEP_3) | instskip(NEXT) | instid1(VALU_DEP_3)
	v_add_f64_e32 v[16:17], v[16:17], v[18:19]
	v_add_f64_e64 v[18:19], v[22:23], -v[39:40]
	s_delay_alu instid0(VALU_DEP_1) | instskip(SKIP_1) | instid1(VALU_DEP_1)
	v_add_f64_e32 v[20:21], v[18:19], v[16:17]
	s_wait_alu 0xfffe
	v_mul_f64_e32 v[22:23], s[4:5], v[20:21]
	v_add_f64_e64 v[18:19], v[20:21], -v[18:19]
	s_delay_alu instid0(VALU_DEP_2) | instskip(NEXT) | instid1(VALU_DEP_2)
	v_fma_f64 v[24:25], v[20:21], s[4:5], -v[22:23]
	v_add_f64_e64 v[16:17], v[16:17], -v[18:19]
	s_delay_alu instid0(VALU_DEP_2) | instskip(NEXT) | instid1(VALU_DEP_1)
	v_fma_f64 v[18:19], v[20:21], s[6:7], v[24:25]
	v_fma_f64 v[18:19], v[16:17], s[4:5], v[18:19]
	s_delay_alu instid0(VALU_DEP_1) | instskip(NEXT) | instid1(VALU_DEP_1)
	v_add_f64_e32 v[16:17], v[22:23], v[18:19]
	v_add_f64_e64 v[20:21], v[16:17], -v[22:23]
	s_delay_alu instid0(VALU_DEP_1)
	v_add_f64_e64 v[18:19], v[18:19], -v[20:21]
	s_and_not1_saveexec_b32 s2, s2
	s_cbranch_execnz .LBB0_8
	s_branch .LBB0_9
.LBB0_7:
	s_wait_alu 0xfffe
	s_and_not1_saveexec_b32 s2, s2
	s_cbranch_execz .LBB0_9
.LBB0_8:
	s_mov_b32 s4, 0x6dc9c883
	s_mov_b32 s5, 0x3fe45f30
	;; [unrolled: 1-line block ×3, first 2 shown]
	s_wait_alu 0xfffe
	v_mul_f64_e64 v[16:17], |v[0:1]|, s[4:5]
	s_mov_b32 s4, 0x54442d18
	s_mov_b32 s5, 0xbff921fb
	;; [unrolled: 1-line block ×3, first 2 shown]
	s_delay_alu instid0(VALU_DEP_1) | instskip(SKIP_1) | instid1(VALU_DEP_1)
	v_rndne_f64_e32 v[20:21], v[16:17]
	s_wait_alu 0xfffe
	v_fma_f64 v[16:17], v[20:21], s[4:5], |v[0:1]|
	v_mul_f64_e32 v[18:19], s[6:7], v[20:21]
	s_mov_b32 s4, 0x252049c0
	s_mov_b32 s5, 0xb97b839a
	v_cvt_i32_f64_e32 v35, v[20:21]
	s_delay_alu instid0(VALU_DEP_3) | instskip(NEXT) | instid1(VALU_DEP_3)
	v_fma_f64 v[24:25], v[20:21], s[6:7], v[16:17]
	v_add_f64_e32 v[22:23], v[16:17], v[18:19]
	s_mov_b32 s7, 0x3c91a626
	s_delay_alu instid0(VALU_DEP_1) | instskip(NEXT) | instid1(VALU_DEP_3)
	v_add_f64_e64 v[16:17], v[16:17], -v[22:23]
	v_add_f64_e64 v[22:23], v[22:23], -v[24:25]
	s_delay_alu instid0(VALU_DEP_2) | instskip(SKIP_2) | instid1(VALU_DEP_2)
	v_add_f64_e32 v[16:17], v[16:17], v[18:19]
	s_wait_alu 0xfffe
	v_fma_f64 v[18:19], v[20:21], s[6:7], v[18:19]
	v_add_f64_e32 v[16:17], v[22:23], v[16:17]
	s_delay_alu instid0(VALU_DEP_1) | instskip(NEXT) | instid1(VALU_DEP_1)
	v_add_f64_e64 v[16:17], v[16:17], -v[18:19]
	v_fma_f64 v[18:19], v[20:21], s[4:5], v[16:17]
	s_delay_alu instid0(VALU_DEP_1) | instskip(NEXT) | instid1(VALU_DEP_1)
	v_add_f64_e32 v[16:17], v[24:25], v[18:19]
	v_add_f64_e64 v[22:23], v[16:17], -v[24:25]
	s_delay_alu instid0(VALU_DEP_1)
	v_add_f64_e64 v[18:19], v[18:19], -v[22:23]
.LBB0_9:
	s_wait_alu 0xfffe
	s_or_b32 exec_lo, exec_lo, s2
	s_mov_b32 s5, 0x400921fb
	s_mov_b32 s4, 0x54442d18
	s_wait_alu 0xfffe
	v_mul_f64_e32 v[6:7], s[4:5], v[6:7]
	v_mul_f64_e32 v[2:3], s[4:5], v[2:3]
	s_delay_alu instid0(VALU_DEP_2) | instskip(NEXT) | instid1(VALU_DEP_2)
	v_div_scale_f64 v[20:21], null, 0x40668000, 0x40668000, v[6:7]
	v_div_scale_f64 v[22:23], null, 0x40668000, 0x40668000, v[2:3]
	v_div_scale_f64 v[32:33], vcc_lo, v[6:7], 0x40668000, v[6:7]
	s_delay_alu instid0(VALU_DEP_3) | instskip(NEXT) | instid1(VALU_DEP_2)
	v_rcp_f64_e32 v[24:25], v[20:21]
	v_rcp_f64_e32 v[26:27], v[22:23]
	s_delay_alu instid0(TRANS32_DEP_2) | instskip(NEXT) | instid1(TRANS32_DEP_1)
	v_fma_f64 v[28:29], -v[20:21], v[24:25], 1.0
	v_fma_f64 v[30:31], -v[22:23], v[26:27], 1.0
	s_delay_alu instid0(VALU_DEP_2) | instskip(NEXT) | instid1(VALU_DEP_2)
	v_fma_f64 v[24:25], v[24:25], v[28:29], v[24:25]
	v_fma_f64 v[26:27], v[26:27], v[30:31], v[26:27]
	s_delay_alu instid0(VALU_DEP_2) | instskip(NEXT) | instid1(VALU_DEP_2)
	v_fma_f64 v[28:29], -v[20:21], v[24:25], 1.0
	v_fma_f64 v[30:31], -v[22:23], v[26:27], 1.0
	s_delay_alu instid0(VALU_DEP_2) | instskip(SKIP_1) | instid1(VALU_DEP_3)
	v_fma_f64 v[24:25], v[24:25], v[28:29], v[24:25]
	v_div_scale_f64 v[28:29], s2, v[2:3], 0x40668000, v[2:3]
	v_fma_f64 v[26:27], v[26:27], v[30:31], v[26:27]
	s_delay_alu instid0(VALU_DEP_3) | instskip(NEXT) | instid1(VALU_DEP_2)
	v_mul_f64_e32 v[30:31], v[32:33], v[24:25]
	v_mul_f64_e32 v[36:37], v[28:29], v[26:27]
	s_delay_alu instid0(VALU_DEP_2) | instskip(NEXT) | instid1(VALU_DEP_2)
	v_fma_f64 v[20:21], -v[20:21], v[30:31], v[32:33]
	v_fma_f64 v[22:23], -v[22:23], v[36:37], v[28:29]
	s_wait_alu 0xfffd
	s_delay_alu instid0(VALU_DEP_2) | instskip(SKIP_2) | instid1(VALU_DEP_2)
	v_div_fmas_f64 v[20:21], v[20:21], v[24:25], v[30:31]
	s_mov_b32 vcc_lo, s2
	s_wait_alu 0xfffe
	v_div_fmas_f64 v[22:23], v[22:23], v[26:27], v[36:37]
                                        ; implicit-def: $vgpr36
	s_delay_alu instid0(VALU_DEP_2) | instskip(NEXT) | instid1(VALU_DEP_2)
	v_div_fixup_f64 v[6:7], v[20:21], 0x40668000, v[6:7]
                                        ; implicit-def: $vgpr20_vgpr21
	v_div_fixup_f64 v[2:3], v[22:23], 0x40668000, v[2:3]
	s_delay_alu instid0(VALU_DEP_1) | instskip(NEXT) | instid1(VALU_DEP_1)
	v_add_f64_e64 v[2:3], v[2:3], -v[6:7]
                                        ; implicit-def: $vgpr6_vgpr7
	v_mul_f64_e32 v[2:3], 0.5, v[2:3]
	s_delay_alu instid0(VALU_DEP_1)
	v_cmp_ngt_f64_e64 s2, 0x41d00000, |v[2:3]|
	v_trig_preop_f64 v[30:31], |v[2:3]|, 0
	v_trig_preop_f64 v[28:29], |v[2:3]|, 1
	v_ldexp_f64 v[32:33], |v[2:3]|, 0xffffff80
	v_trig_preop_f64 v[26:27], |v[2:3]|, 2
	v_and_b32_e32 v38, 0x7fffffff, v3
	s_and_saveexec_b32 s3, s2
	s_wait_alu 0xfffe
	s_xor_b32 s3, exec_lo, s3
	s_cbranch_execz .LBB0_11
; %bb.10:
	v_cmp_le_f64_e64 vcc_lo, 0x7b000000, |v[2:3]|
	v_mov_b32_e32 v49, 0
	s_mov_b32 s5, 0x3ff921fb
	s_mov_b32 s6, 0x33145c07
	;; [unrolled: 1-line block ×3, first 2 shown]
	s_wait_alu 0xfffd
	v_cndmask_b32_e32 v7, v38, v33, vcc_lo
	v_cndmask_b32_e32 v6, v2, v32, vcc_lo
	s_delay_alu instid0(VALU_DEP_1) | instskip(SKIP_1) | instid1(VALU_DEP_2)
	v_mul_f64_e32 v[20:21], v[30:31], v[6:7]
	v_mul_f64_e32 v[22:23], v[28:29], v[6:7]
	v_fma_f64 v[24:25], v[30:31], v[6:7], -v[20:21]
	s_delay_alu instid0(VALU_DEP_2) | instskip(NEXT) | instid1(VALU_DEP_2)
	v_fma_f64 v[47:48], v[28:29], v[6:7], -v[22:23]
	v_add_f64_e32 v[36:37], v[22:23], v[24:25]
	s_delay_alu instid0(VALU_DEP_1) | instskip(SKIP_1) | instid1(VALU_DEP_2)
	v_add_f64_e64 v[39:40], v[36:37], -v[22:23]
	v_add_f64_e32 v[43:44], v[20:21], v[36:37]
	v_add_f64_e64 v[41:42], v[36:37], -v[39:40]
	v_add_f64_e64 v[24:25], v[24:25], -v[39:40]
	s_delay_alu instid0(VALU_DEP_3) | instskip(SKIP_1) | instid1(VALU_DEP_4)
	v_ldexp_f64 v[39:40], v[43:44], -2
	v_add_f64_e64 v[20:21], v[43:44], -v[20:21]
	v_add_f64_e64 v[22:23], v[22:23], -v[41:42]
	s_delay_alu instid0(VALU_DEP_3) | instskip(NEXT) | instid1(VALU_DEP_3)
	v_cmp_neq_f64_e64 vcc_lo, 0x7ff00000, |v[39:40]|
	v_add_f64_e64 v[20:21], v[36:37], -v[20:21]
	s_delay_alu instid0(VALU_DEP_3) | instskip(SKIP_1) | instid1(VALU_DEP_1)
	v_add_f64_e32 v[22:23], v[24:25], v[22:23]
	v_fract_f64_e32 v[24:25], v[39:40]
	v_ldexp_f64 v[24:25], v[24:25], 2
	s_wait_alu 0xfffd
	s_delay_alu instid0(VALU_DEP_1) | instskip(SKIP_1) | instid1(VALU_DEP_1)
	v_dual_cndmask_b32 v25, 0, v25 :: v_dual_cndmask_b32 v24, 0, v24
	v_mul_f64_e32 v[45:46], v[26:27], v[6:7]
	v_add_f64_e32 v[41:42], v[45:46], v[47:48]
	v_fma_f64 v[6:7], v[26:27], v[6:7], -v[45:46]
	s_delay_alu instid0(VALU_DEP_2) | instskip(NEXT) | instid1(VALU_DEP_1)
	v_add_f64_e32 v[36:37], v[41:42], v[22:23]
	v_add_f64_e32 v[39:40], v[20:21], v[36:37]
	s_delay_alu instid0(VALU_DEP_1) | instskip(SKIP_1) | instid1(VALU_DEP_2)
	v_add_f64_e32 v[43:44], v[39:40], v[24:25]
	v_add_f64_e64 v[20:21], v[39:40], -v[20:21]
	v_cmp_gt_f64_e32 vcc_lo, 0, v[43:44]
	v_add_f64_e64 v[43:44], v[41:42], -v[45:46]
	s_delay_alu instid0(VALU_DEP_3) | instskip(SKIP_2) | instid1(VALU_DEP_3)
	v_add_f64_e64 v[20:21], v[36:37], -v[20:21]
	s_wait_alu 0xfffd
	v_cndmask_b32_e64 v50, 0, 0x40100000, vcc_lo
	v_add_f64_e64 v[54:55], v[41:42], -v[43:44]
	v_add_f64_e64 v[43:44], v[47:48], -v[43:44]
	s_delay_alu instid0(VALU_DEP_3) | instskip(SKIP_1) | instid1(VALU_DEP_4)
	v_add_f64_e32 v[24:25], v[24:25], v[49:50]
	v_add_f64_e64 v[50:51], v[36:37], -v[41:42]
	v_add_f64_e64 v[47:48], v[45:46], -v[54:55]
	s_delay_alu instid0(VALU_DEP_3) | instskip(NEXT) | instid1(VALU_DEP_3)
	v_add_f64_e32 v[52:53], v[39:40], v[24:25]
	v_add_f64_e64 v[56:57], v[36:37], -v[50:51]
	v_add_f64_e64 v[22:23], v[22:23], -v[50:51]
	s_delay_alu instid0(VALU_DEP_4) | instskip(NEXT) | instid1(VALU_DEP_4)
	v_add_f64_e32 v[43:44], v[43:44], v[47:48]
	v_cvt_i32_f64_e32 v52, v[52:53]
	s_delay_alu instid0(VALU_DEP_4) | instskip(NEXT) | instid1(VALU_DEP_2)
	v_add_f64_e64 v[41:42], v[41:42], -v[56:57]
	v_cvt_f64_i32_e32 v[50:51], v52
	s_delay_alu instid0(VALU_DEP_2) | instskip(NEXT) | instid1(VALU_DEP_2)
	v_add_f64_e32 v[22:23], v[22:23], v[41:42]
	v_add_f64_e64 v[24:25], v[24:25], -v[50:51]
	s_delay_alu instid0(VALU_DEP_2) | instskip(NEXT) | instid1(VALU_DEP_2)
	v_add_f64_e32 v[22:23], v[43:44], v[22:23]
	v_add_f64_e32 v[41:42], v[39:40], v[24:25]
	s_delay_alu instid0(VALU_DEP_2) | instskip(NEXT) | instid1(VALU_DEP_2)
	v_add_f64_e32 v[6:7], v[6:7], v[22:23]
	v_add_f64_e64 v[22:23], v[41:42], -v[24:25]
	v_cmp_le_f64_e32 vcc_lo, 0.5, v[41:42]
	s_delay_alu instid0(VALU_DEP_3) | instskip(NEXT) | instid1(VALU_DEP_3)
	v_add_f64_e32 v[6:7], v[20:21], v[6:7]
	v_add_f64_e64 v[20:21], v[39:40], -v[22:23]
	s_wait_alu 0xfffd
	v_cndmask_b32_e64 v50, 0, 0x3ff00000, vcc_lo
	v_add_co_ci_u32_e64 v36, null, 0, v52, vcc_lo
	s_delay_alu instid0(VALU_DEP_3) | instskip(NEXT) | instid1(VALU_DEP_3)
	v_add_f64_e32 v[6:7], v[6:7], v[20:21]
	v_add_f64_e64 v[20:21], v[41:42], -v[49:50]
	s_delay_alu instid0(VALU_DEP_1) | instskip(SKIP_1) | instid1(VALU_DEP_1)
	v_add_f64_e32 v[22:23], v[20:21], v[6:7]
	s_wait_alu 0xfffe
	v_mul_f64_e32 v[24:25], s[4:5], v[22:23]
	v_add_f64_e64 v[20:21], v[22:23], -v[20:21]
	s_delay_alu instid0(VALU_DEP_2) | instskip(NEXT) | instid1(VALU_DEP_2)
	v_fma_f64 v[39:40], v[22:23], s[4:5], -v[24:25]
	v_add_f64_e64 v[6:7], v[6:7], -v[20:21]
	s_delay_alu instid0(VALU_DEP_2) | instskip(NEXT) | instid1(VALU_DEP_1)
	v_fma_f64 v[20:21], v[22:23], s[6:7], v[39:40]
	v_fma_f64 v[20:21], v[6:7], s[4:5], v[20:21]
	s_delay_alu instid0(VALU_DEP_1) | instskip(NEXT) | instid1(VALU_DEP_1)
	v_add_f64_e32 v[6:7], v[24:25], v[20:21]
	v_add_f64_e64 v[22:23], v[6:7], -v[24:25]
	s_delay_alu instid0(VALU_DEP_1)
	v_add_f64_e64 v[20:21], v[20:21], -v[22:23]
	s_and_not1_saveexec_b32 s3, s3
	s_cbranch_execz .LBB0_13
	s_branch .LBB0_12
.LBB0_11:
	s_wait_alu 0xfffe
	s_and_not1_saveexec_b32 s3, s3
	s_cbranch_execz .LBB0_13
.LBB0_12:
	s_mov_b32 s4, 0x6dc9c883
	s_mov_b32 s5, 0x3fe45f30
	s_mov_b32 s7, 0xbc91a626
	s_wait_alu 0xfffe
	v_mul_f64_e64 v[6:7], |v[2:3]|, s[4:5]
	s_mov_b32 s4, 0x54442d18
	s_mov_b32 s5, 0xbff921fb
	;; [unrolled: 1-line block ×3, first 2 shown]
	s_delay_alu instid0(VALU_DEP_1) | instskip(SKIP_1) | instid1(VALU_DEP_1)
	v_rndne_f64_e32 v[22:23], v[6:7]
	s_wait_alu 0xfffe
	v_fma_f64 v[6:7], v[22:23], s[4:5], |v[2:3]|
	v_mul_f64_e32 v[20:21], s[6:7], v[22:23]
	s_mov_b32 s4, 0x252049c0
	s_mov_b32 s5, 0xb97b839a
	s_delay_alu instid0(VALU_DEP_2) | instskip(NEXT) | instid1(VALU_DEP_2)
	v_fma_f64 v[36:37], v[22:23], s[6:7], v[6:7]
	v_add_f64_e32 v[24:25], v[6:7], v[20:21]
	s_mov_b32 s7, 0x3c91a626
	s_delay_alu instid0(VALU_DEP_1) | instskip(NEXT) | instid1(VALU_DEP_3)
	v_add_f64_e64 v[6:7], v[6:7], -v[24:25]
	v_add_f64_e64 v[24:25], v[24:25], -v[36:37]
	s_delay_alu instid0(VALU_DEP_2) | instskip(SKIP_2) | instid1(VALU_DEP_2)
	v_add_f64_e32 v[6:7], v[6:7], v[20:21]
	s_wait_alu 0xfffe
	v_fma_f64 v[20:21], v[22:23], s[6:7], v[20:21]
	v_add_f64_e32 v[6:7], v[24:25], v[6:7]
	s_delay_alu instid0(VALU_DEP_1) | instskip(NEXT) | instid1(VALU_DEP_1)
	v_add_f64_e64 v[6:7], v[6:7], -v[20:21]
	v_fma_f64 v[20:21], v[22:23], s[4:5], v[6:7]
	s_delay_alu instid0(VALU_DEP_1) | instskip(NEXT) | instid1(VALU_DEP_1)
	v_add_f64_e32 v[6:7], v[36:37], v[20:21]
	v_add_f64_e64 v[24:25], v[6:7], -v[36:37]
	v_cvt_i32_f64_e32 v36, v[22:23]
	s_delay_alu instid0(VALU_DEP_2)
	v_add_f64_e64 v[20:21], v[20:21], -v[24:25]
.LBB0_13:
	s_wait_alu 0xfffe
	s_or_b32 exec_lo, exec_lo, s3
                                        ; implicit-def: $vgpr37
                                        ; implicit-def: $vgpr22_vgpr23
                                        ; implicit-def: $vgpr24_vgpr25
	s_and_saveexec_b32 s3, s2
	s_wait_alu 0xfffe
	s_xor_b32 s2, exec_lo, s3
	s_cbranch_execz .LBB0_15
; %bb.14:
	v_cmp_le_f64_e64 vcc_lo, 0x7b000000, |v[2:3]|
	v_mov_b32_e32 v47, 0
	s_mov_b32 s4, 0x54442d18
	s_mov_b32 s5, 0x3ff921fb
	;; [unrolled: 1-line block ×4, first 2 shown]
	s_wait_alu 0xfffd
	v_cndmask_b32_e32 v23, v38, v33, vcc_lo
	v_cndmask_b32_e32 v22, v2, v32, vcc_lo
	s_delay_alu instid0(VALU_DEP_1) | instskip(SKIP_1) | instid1(VALU_DEP_2)
	v_mul_f64_e32 v[24:25], v[30:31], v[22:23]
	v_mul_f64_e32 v[32:33], v[28:29], v[22:23]
	v_fma_f64 v[30:31], v[30:31], v[22:23], -v[24:25]
	s_delay_alu instid0(VALU_DEP_2) | instskip(NEXT) | instid1(VALU_DEP_2)
	v_fma_f64 v[28:29], v[28:29], v[22:23], -v[32:33]
	v_add_f64_e32 v[37:38], v[32:33], v[30:31]
	s_delay_alu instid0(VALU_DEP_1) | instskip(SKIP_1) | instid1(VALU_DEP_2)
	v_add_f64_e64 v[39:40], v[37:38], -v[32:33]
	v_add_f64_e32 v[43:44], v[24:25], v[37:38]
	v_add_f64_e64 v[41:42], v[37:38], -v[39:40]
	v_add_f64_e64 v[30:31], v[30:31], -v[39:40]
	s_delay_alu instid0(VALU_DEP_3) | instskip(SKIP_1) | instid1(VALU_DEP_4)
	v_ldexp_f64 v[39:40], v[43:44], -2
	v_add_f64_e64 v[24:25], v[43:44], -v[24:25]
	v_add_f64_e64 v[32:33], v[32:33], -v[41:42]
	s_delay_alu instid0(VALU_DEP_3) | instskip(NEXT) | instid1(VALU_DEP_3)
	v_cmp_neq_f64_e64 vcc_lo, 0x7ff00000, |v[39:40]|
	v_add_f64_e64 v[24:25], v[37:38], -v[24:25]
	s_delay_alu instid0(VALU_DEP_3) | instskip(SKIP_1) | instid1(VALU_DEP_1)
	v_add_f64_e32 v[30:31], v[30:31], v[32:33]
	v_fract_f64_e32 v[32:33], v[39:40]
	v_ldexp_f64 v[32:33], v[32:33], 2
	s_wait_alu 0xfffd
	s_delay_alu instid0(VALU_DEP_1) | instskip(SKIP_1) | instid1(VALU_DEP_1)
	v_dual_cndmask_b32 v33, 0, v33 :: v_dual_cndmask_b32 v32, 0, v32
	v_mul_f64_e32 v[45:46], v[26:27], v[22:23]
	v_add_f64_e32 v[41:42], v[45:46], v[28:29]
	v_fma_f64 v[22:23], v[26:27], v[22:23], -v[45:46]
	s_delay_alu instid0(VALU_DEP_2) | instskip(NEXT) | instid1(VALU_DEP_1)
	v_add_f64_e32 v[37:38], v[41:42], v[30:31]
	v_add_f64_e32 v[39:40], v[24:25], v[37:38]
	s_delay_alu instid0(VALU_DEP_1) | instskip(SKIP_1) | instid1(VALU_DEP_2)
	v_add_f64_e32 v[43:44], v[39:40], v[32:33]
	v_add_f64_e64 v[24:25], v[39:40], -v[24:25]
	v_cmp_gt_f64_e32 vcc_lo, 0, v[43:44]
	v_add_f64_e64 v[43:44], v[41:42], -v[45:46]
	s_delay_alu instid0(VALU_DEP_3) | instskip(SKIP_2) | instid1(VALU_DEP_3)
	v_add_f64_e64 v[24:25], v[37:38], -v[24:25]
	s_wait_alu 0xfffd
	v_cndmask_b32_e64 v48, 0, 0x40100000, vcc_lo
	v_add_f64_e64 v[52:53], v[41:42], -v[43:44]
	v_add_f64_e64 v[28:29], v[28:29], -v[43:44]
	s_delay_alu instid0(VALU_DEP_3) | instskip(SKIP_1) | instid1(VALU_DEP_4)
	v_add_f64_e32 v[32:33], v[32:33], v[47:48]
	v_add_f64_e64 v[48:49], v[37:38], -v[41:42]
	v_add_f64_e64 v[43:44], v[45:46], -v[52:53]
	s_delay_alu instid0(VALU_DEP_3) | instskip(NEXT) | instid1(VALU_DEP_3)
	v_add_f64_e32 v[50:51], v[39:40], v[32:33]
	v_add_f64_e64 v[54:55], v[37:38], -v[48:49]
	v_add_f64_e64 v[30:31], v[30:31], -v[48:49]
	s_delay_alu instid0(VALU_DEP_4) | instskip(NEXT) | instid1(VALU_DEP_4)
	v_add_f64_e32 v[28:29], v[28:29], v[43:44]
	v_cvt_i32_f64_e32 v50, v[50:51]
	s_delay_alu instid0(VALU_DEP_4) | instskip(NEXT) | instid1(VALU_DEP_2)
	v_add_f64_e64 v[41:42], v[41:42], -v[54:55]
	v_cvt_f64_i32_e32 v[48:49], v50
	s_delay_alu instid0(VALU_DEP_2) | instskip(NEXT) | instid1(VALU_DEP_2)
	v_add_f64_e32 v[30:31], v[30:31], v[41:42]
	v_add_f64_e64 v[32:33], v[32:33], -v[48:49]
	s_delay_alu instid0(VALU_DEP_2) | instskip(NEXT) | instid1(VALU_DEP_2)
	v_add_f64_e32 v[26:27], v[28:29], v[30:31]
	v_add_f64_e32 v[28:29], v[39:40], v[32:33]
	s_delay_alu instid0(VALU_DEP_2) | instskip(NEXT) | instid1(VALU_DEP_2)
	v_add_f64_e32 v[22:23], v[22:23], v[26:27]
	v_add_f64_e64 v[26:27], v[28:29], -v[32:33]
	v_cmp_le_f64_e32 vcc_lo, 0.5, v[28:29]
	s_delay_alu instid0(VALU_DEP_3) | instskip(NEXT) | instid1(VALU_DEP_3)
	v_add_f64_e32 v[22:23], v[24:25], v[22:23]
	v_add_f64_e64 v[24:25], v[39:40], -v[26:27]
	s_wait_alu 0xfffd
	v_cndmask_b32_e64 v48, 0, 0x3ff00000, vcc_lo
	v_add_co_ci_u32_e64 v37, null, 0, v50, vcc_lo
	s_delay_alu instid0(VALU_DEP_3) | instskip(NEXT) | instid1(VALU_DEP_3)
	v_add_f64_e32 v[22:23], v[22:23], v[24:25]
	v_add_f64_e64 v[24:25], v[28:29], -v[47:48]
	s_delay_alu instid0(VALU_DEP_1) | instskip(SKIP_1) | instid1(VALU_DEP_1)
	v_add_f64_e32 v[26:27], v[24:25], v[22:23]
	s_wait_alu 0xfffe
	v_mul_f64_e32 v[28:29], s[4:5], v[26:27]
	v_add_f64_e64 v[24:25], v[26:27], -v[24:25]
	s_delay_alu instid0(VALU_DEP_2) | instskip(NEXT) | instid1(VALU_DEP_2)
	v_fma_f64 v[30:31], v[26:27], s[4:5], -v[28:29]
	v_add_f64_e64 v[22:23], v[22:23], -v[24:25]
	s_delay_alu instid0(VALU_DEP_2) | instskip(NEXT) | instid1(VALU_DEP_1)
	v_fma_f64 v[24:25], v[26:27], s[6:7], v[30:31]
	v_fma_f64 v[24:25], v[22:23], s[4:5], v[24:25]
	s_delay_alu instid0(VALU_DEP_1) | instskip(NEXT) | instid1(VALU_DEP_1)
	v_add_f64_e32 v[22:23], v[28:29], v[24:25]
	v_add_f64_e64 v[26:27], v[22:23], -v[28:29]
	s_delay_alu instid0(VALU_DEP_1)
	v_add_f64_e64 v[24:25], v[24:25], -v[26:27]
	s_and_not1_saveexec_b32 s2, s2
	s_cbranch_execnz .LBB0_16
	s_branch .LBB0_17
.LBB0_15:
	s_wait_alu 0xfffe
	s_and_not1_saveexec_b32 s2, s2
	s_cbranch_execz .LBB0_17
.LBB0_16:
	s_mov_b32 s4, 0x6dc9c883
	s_mov_b32 s5, 0x3fe45f30
	;; [unrolled: 1-line block ×3, first 2 shown]
	s_wait_alu 0xfffe
	v_mul_f64_e64 v[22:23], |v[2:3]|, s[4:5]
	s_mov_b32 s4, 0x54442d18
	s_mov_b32 s5, 0xbff921fb
	;; [unrolled: 1-line block ×3, first 2 shown]
	s_delay_alu instid0(VALU_DEP_1) | instskip(SKIP_1) | instid1(VALU_DEP_1)
	v_rndne_f64_e32 v[26:27], v[22:23]
	s_wait_alu 0xfffe
	v_fma_f64 v[22:23], v[26:27], s[4:5], |v[2:3]|
	v_mul_f64_e32 v[24:25], s[6:7], v[26:27]
	s_mov_b32 s4, 0x252049c0
	s_mov_b32 s5, 0xb97b839a
	v_cvt_i32_f64_e32 v37, v[26:27]
	s_delay_alu instid0(VALU_DEP_3) | instskip(NEXT) | instid1(VALU_DEP_3)
	v_fma_f64 v[30:31], v[26:27], s[6:7], v[22:23]
	v_add_f64_e32 v[28:29], v[22:23], v[24:25]
	s_mov_b32 s7, 0x3c91a626
	s_delay_alu instid0(VALU_DEP_1) | instskip(NEXT) | instid1(VALU_DEP_3)
	v_add_f64_e64 v[22:23], v[22:23], -v[28:29]
	v_add_f64_e64 v[28:29], v[28:29], -v[30:31]
	s_delay_alu instid0(VALU_DEP_2) | instskip(SKIP_2) | instid1(VALU_DEP_2)
	v_add_f64_e32 v[22:23], v[22:23], v[24:25]
	s_wait_alu 0xfffe
	v_fma_f64 v[24:25], v[26:27], s[6:7], v[24:25]
	v_add_f64_e32 v[22:23], v[28:29], v[22:23]
	s_delay_alu instid0(VALU_DEP_1) | instskip(NEXT) | instid1(VALU_DEP_1)
	v_add_f64_e64 v[22:23], v[22:23], -v[24:25]
	v_fma_f64 v[24:25], v[26:27], s[4:5], v[22:23]
	s_delay_alu instid0(VALU_DEP_1) | instskip(NEXT) | instid1(VALU_DEP_1)
	v_add_f64_e32 v[22:23], v[30:31], v[24:25]
	v_add_f64_e64 v[28:29], v[22:23], -v[30:31]
	s_delay_alu instid0(VALU_DEP_1)
	v_add_f64_e64 v[24:25], v[24:25], -v[28:29]
.LBB0_17:
	s_wait_alu 0xfffe
	s_or_b32 exec_lo, exec_lo, s2
	v_cmp_ngt_f64_e64 s2, 0x41d00000, |v[10:11]|
                                        ; implicit-def: $vgpr38
                                        ; implicit-def: $vgpr26_vgpr27
                                        ; implicit-def: $vgpr28_vgpr29
	s_and_saveexec_b32 s3, s2
	s_wait_alu 0xfffe
	s_xor_b32 s2, exec_lo, s3
	s_cbranch_execz .LBB0_19
; %bb.18:
	v_ldexp_f64 v[26:27], |v[10:11]|, 0xffffff80
	v_cmp_le_f64_e64 vcc_lo, 0x7b000000, |v[10:11]|
	v_trig_preop_f64 v[28:29], |v[10:11]|, 0
	v_and_b32_e32 v30, 0x7fffffff, v11
	v_trig_preop_f64 v[44:45], |v[10:11]|, 2
	v_mov_b32_e32 v52, 0
	s_mov_b32 s4, 0x54442d18
	s_mov_b32 s5, 0x3ff921fb
	;; [unrolled: 1-line block ×4, first 2 shown]
	s_wait_alu 0xfffd
	v_cndmask_b32_e32 v27, v30, v27, vcc_lo
	v_cndmask_b32_e32 v26, v10, v26, vcc_lo
	v_trig_preop_f64 v[30:31], |v[10:11]|, 1
	s_delay_alu instid0(VALU_DEP_2) | instskip(NEXT) | instid1(VALU_DEP_2)
	v_mul_f64_e32 v[32:33], v[28:29], v[26:27]
	v_mul_f64_e32 v[38:39], v[30:31], v[26:27]
	s_delay_alu instid0(VALU_DEP_2) | instskip(NEXT) | instid1(VALU_DEP_2)
	v_fma_f64 v[28:29], v[28:29], v[26:27], -v[32:33]
	v_fma_f64 v[30:31], v[30:31], v[26:27], -v[38:39]
	s_delay_alu instid0(VALU_DEP_2) | instskip(NEXT) | instid1(VALU_DEP_1)
	v_add_f64_e32 v[40:41], v[38:39], v[28:29]
	v_add_f64_e64 v[42:43], v[40:41], -v[38:39]
	v_add_f64_e32 v[48:49], v[32:33], v[40:41]
	s_delay_alu instid0(VALU_DEP_2) | instskip(SKIP_1) | instid1(VALU_DEP_3)
	v_add_f64_e64 v[46:47], v[40:41], -v[42:43]
	v_add_f64_e64 v[28:29], v[28:29], -v[42:43]
	v_ldexp_f64 v[42:43], v[48:49], -2
	v_add_f64_e64 v[32:33], v[48:49], -v[32:33]
	s_delay_alu instid0(VALU_DEP_4) | instskip(NEXT) | instid1(VALU_DEP_3)
	v_add_f64_e64 v[38:39], v[38:39], -v[46:47]
	v_cmp_neq_f64_e64 vcc_lo, 0x7ff00000, |v[42:43]|
	s_delay_alu instid0(VALU_DEP_3) | instskip(NEXT) | instid1(VALU_DEP_3)
	v_add_f64_e64 v[32:33], v[40:41], -v[32:33]
	v_add_f64_e32 v[28:29], v[28:29], v[38:39]
	v_fract_f64_e32 v[38:39], v[42:43]
	s_delay_alu instid0(VALU_DEP_1) | instskip(SKIP_1) | instid1(VALU_DEP_1)
	v_ldexp_f64 v[38:39], v[38:39], 2
	s_wait_alu 0xfffd
	v_dual_cndmask_b32 v39, 0, v39 :: v_dual_cndmask_b32 v38, 0, v38
	v_mul_f64_e32 v[50:51], v[44:45], v[26:27]
	s_delay_alu instid0(VALU_DEP_1) | instskip(SKIP_1) | instid1(VALU_DEP_2)
	v_add_f64_e32 v[46:47], v[50:51], v[30:31]
	v_fma_f64 v[26:27], v[44:45], v[26:27], -v[50:51]
	v_add_f64_e32 v[40:41], v[46:47], v[28:29]
	s_delay_alu instid0(VALU_DEP_1) | instskip(NEXT) | instid1(VALU_DEP_1)
	v_add_f64_e32 v[42:43], v[32:33], v[40:41]
	v_add_f64_e32 v[48:49], v[42:43], v[38:39]
	v_add_f64_e64 v[32:33], v[42:43], -v[32:33]
	s_delay_alu instid0(VALU_DEP_2) | instskip(SKIP_1) | instid1(VALU_DEP_3)
	v_cmp_gt_f64_e32 vcc_lo, 0, v[48:49]
	v_add_f64_e64 v[48:49], v[46:47], -v[50:51]
	v_add_f64_e64 v[32:33], v[40:41], -v[32:33]
	s_wait_alu 0xfffd
	v_cndmask_b32_e64 v53, 0, 0x40100000, vcc_lo
	s_delay_alu instid0(VALU_DEP_3) | instskip(SKIP_1) | instid1(VALU_DEP_3)
	v_add_f64_e64 v[57:58], v[46:47], -v[48:49]
	v_add_f64_e64 v[30:31], v[30:31], -v[48:49]
	v_add_f64_e32 v[38:39], v[38:39], v[52:53]
	v_add_f64_e64 v[53:54], v[40:41], -v[46:47]
	s_delay_alu instid0(VALU_DEP_4) | instskip(NEXT) | instid1(VALU_DEP_3)
	v_add_f64_e64 v[48:49], v[50:51], -v[57:58]
	v_add_f64_e32 v[55:56], v[42:43], v[38:39]
	s_delay_alu instid0(VALU_DEP_3) | instskip(SKIP_1) | instid1(VALU_DEP_4)
	v_add_f64_e64 v[59:60], v[40:41], -v[53:54]
	v_add_f64_e64 v[28:29], v[28:29], -v[53:54]
	v_add_f64_e32 v[30:31], v[30:31], v[48:49]
	s_delay_alu instid0(VALU_DEP_4) | instskip(NEXT) | instid1(VALU_DEP_4)
	v_cvt_i32_f64_e32 v55, v[55:56]
	v_add_f64_e64 v[46:47], v[46:47], -v[59:60]
	s_delay_alu instid0(VALU_DEP_2) | instskip(NEXT) | instid1(VALU_DEP_2)
	v_cvt_f64_i32_e32 v[53:54], v55
	v_add_f64_e32 v[28:29], v[28:29], v[46:47]
	s_delay_alu instid0(VALU_DEP_2) | instskip(NEXT) | instid1(VALU_DEP_2)
	v_add_f64_e64 v[38:39], v[38:39], -v[53:54]
	v_add_f64_e32 v[28:29], v[30:31], v[28:29]
	s_delay_alu instid0(VALU_DEP_2) | instskip(NEXT) | instid1(VALU_DEP_2)
	v_add_f64_e32 v[30:31], v[42:43], v[38:39]
	v_add_f64_e32 v[26:27], v[26:27], v[28:29]
	s_delay_alu instid0(VALU_DEP_2) | instskip(SKIP_1) | instid1(VALU_DEP_3)
	v_add_f64_e64 v[28:29], v[30:31], -v[38:39]
	v_cmp_le_f64_e32 vcc_lo, 0.5, v[30:31]
	v_add_f64_e32 v[26:27], v[32:33], v[26:27]
	s_delay_alu instid0(VALU_DEP_3) | instskip(SKIP_3) | instid1(VALU_DEP_3)
	v_add_f64_e64 v[28:29], v[42:43], -v[28:29]
	s_wait_alu 0xfffd
	v_cndmask_b32_e64 v53, 0, 0x3ff00000, vcc_lo
	v_add_co_ci_u32_e64 v38, null, 0, v55, vcc_lo
	v_add_f64_e32 v[26:27], v[26:27], v[28:29]
	s_delay_alu instid0(VALU_DEP_3) | instskip(NEXT) | instid1(VALU_DEP_1)
	v_add_f64_e64 v[28:29], v[30:31], -v[52:53]
	v_add_f64_e32 v[30:31], v[28:29], v[26:27]
	s_wait_alu 0xfffe
	s_delay_alu instid0(VALU_DEP_1) | instskip(SKIP_1) | instid1(VALU_DEP_2)
	v_mul_f64_e32 v[32:33], s[4:5], v[30:31]
	v_add_f64_e64 v[28:29], v[30:31], -v[28:29]
	v_fma_f64 v[39:40], v[30:31], s[4:5], -v[32:33]
	s_delay_alu instid0(VALU_DEP_2) | instskip(NEXT) | instid1(VALU_DEP_2)
	v_add_f64_e64 v[26:27], v[26:27], -v[28:29]
	v_fma_f64 v[28:29], v[30:31], s[6:7], v[39:40]
	s_delay_alu instid0(VALU_DEP_1) | instskip(NEXT) | instid1(VALU_DEP_1)
	v_fma_f64 v[28:29], v[26:27], s[4:5], v[28:29]
	v_add_f64_e32 v[26:27], v[32:33], v[28:29]
	s_delay_alu instid0(VALU_DEP_1) | instskip(NEXT) | instid1(VALU_DEP_1)
	v_add_f64_e64 v[30:31], v[26:27], -v[32:33]
	v_add_f64_e64 v[28:29], v[28:29], -v[30:31]
.LBB0_19:
	s_wait_alu 0xfffe
	s_and_not1_saveexec_b32 s2, s2
	s_cbranch_execz .LBB0_21
; %bb.20:
	s_mov_b32 s4, 0x6dc9c883
	s_mov_b32 s5, 0x3fe45f30
	;; [unrolled: 1-line block ×3, first 2 shown]
	s_wait_alu 0xfffe
	v_mul_f64_e64 v[26:27], |v[10:11]|, s[4:5]
	s_mov_b32 s4, 0x54442d18
	s_mov_b32 s5, 0xbff921fb
	;; [unrolled: 1-line block ×3, first 2 shown]
	s_delay_alu instid0(VALU_DEP_1) | instskip(SKIP_1) | instid1(VALU_DEP_1)
	v_rndne_f64_e32 v[30:31], v[26:27]
	s_wait_alu 0xfffe
	v_fma_f64 v[26:27], v[30:31], s[4:5], |v[10:11]|
	v_mul_f64_e32 v[28:29], s[6:7], v[30:31]
	s_mov_b32 s4, 0x252049c0
	s_mov_b32 s5, 0xb97b839a
	s_delay_alu instid0(VALU_DEP_2) | instskip(NEXT) | instid1(VALU_DEP_2)
	v_fma_f64 v[38:39], v[30:31], s[6:7], v[26:27]
	v_add_f64_e32 v[32:33], v[26:27], v[28:29]
	s_mov_b32 s7, 0x3c91a626
	s_delay_alu instid0(VALU_DEP_1) | instskip(NEXT) | instid1(VALU_DEP_3)
	v_add_f64_e64 v[26:27], v[26:27], -v[32:33]
	v_add_f64_e64 v[32:33], v[32:33], -v[38:39]
	s_delay_alu instid0(VALU_DEP_2) | instskip(SKIP_2) | instid1(VALU_DEP_2)
	v_add_f64_e32 v[26:27], v[26:27], v[28:29]
	s_wait_alu 0xfffe
	v_fma_f64 v[28:29], v[30:31], s[6:7], v[28:29]
	v_add_f64_e32 v[26:27], v[32:33], v[26:27]
	s_delay_alu instid0(VALU_DEP_1) | instskip(NEXT) | instid1(VALU_DEP_1)
	v_add_f64_e64 v[26:27], v[26:27], -v[28:29]
	v_fma_f64 v[28:29], v[30:31], s[4:5], v[26:27]
	s_delay_alu instid0(VALU_DEP_1) | instskip(NEXT) | instid1(VALU_DEP_1)
	v_add_f64_e32 v[26:27], v[38:39], v[28:29]
	v_add_f64_e64 v[32:33], v[26:27], -v[38:39]
	v_cvt_i32_f64_e32 v38, v[30:31]
	s_delay_alu instid0(VALU_DEP_2)
	v_add_f64_e64 v[28:29], v[28:29], -v[32:33]
.LBB0_21:
	s_wait_alu 0xfffe
	s_or_b32 exec_lo, exec_lo, s2
	v_cmp_ngt_f64_e64 s2, 0x41d00000, |v[4:5]|
                                        ; implicit-def: $vgpr39
                                        ; implicit-def: $vgpr30_vgpr31
                                        ; implicit-def: $vgpr32_vgpr33
	s_and_saveexec_b32 s3, s2
	s_wait_alu 0xfffe
	s_xor_b32 s2, exec_lo, s3
	s_cbranch_execz .LBB0_23
; %bb.22:
	v_ldexp_f64 v[30:31], |v[4:5]|, 0xffffff80
	v_cmp_le_f64_e64 vcc_lo, 0x7b000000, |v[4:5]|
	v_trig_preop_f64 v[32:33], |v[4:5]|, 0
	v_and_b32_e32 v39, 0x7fffffff, v5
	v_trig_preop_f64 v[49:50], |v[4:5]|, 2
	v_mov_b32_e32 v57, 0
	s_mov_b32 s4, 0x54442d18
	s_mov_b32 s5, 0x3ff921fb
	s_mov_b32 s6, 0x33145c07
	s_mov_b32 s7, 0x3c91a626
	s_wait_alu 0xfffd
	v_dual_cndmask_b32 v30, v4, v30 :: v_dual_cndmask_b32 v31, v39, v31
	v_trig_preop_f64 v[39:40], |v[4:5]|, 1
	s_delay_alu instid0(VALU_DEP_2) | instskip(NEXT) | instid1(VALU_DEP_2)
	v_mul_f64_e32 v[41:42], v[32:33], v[30:31]
	v_mul_f64_e32 v[43:44], v[39:40], v[30:31]
	s_delay_alu instid0(VALU_DEP_2) | instskip(NEXT) | instid1(VALU_DEP_2)
	v_fma_f64 v[32:33], v[32:33], v[30:31], -v[41:42]
	v_fma_f64 v[39:40], v[39:40], v[30:31], -v[43:44]
	s_delay_alu instid0(VALU_DEP_2) | instskip(NEXT) | instid1(VALU_DEP_1)
	v_add_f64_e32 v[45:46], v[43:44], v[32:33]
	v_add_f64_e64 v[47:48], v[45:46], -v[43:44]
	v_add_f64_e32 v[53:54], v[41:42], v[45:46]
	s_delay_alu instid0(VALU_DEP_2) | instskip(SKIP_1) | instid1(VALU_DEP_3)
	v_add_f64_e64 v[51:52], v[45:46], -v[47:48]
	v_add_f64_e64 v[32:33], v[32:33], -v[47:48]
	v_ldexp_f64 v[47:48], v[53:54], -2
	v_add_f64_e64 v[41:42], v[53:54], -v[41:42]
	s_delay_alu instid0(VALU_DEP_4) | instskip(NEXT) | instid1(VALU_DEP_3)
	v_add_f64_e64 v[43:44], v[43:44], -v[51:52]
	v_cmp_neq_f64_e64 vcc_lo, 0x7ff00000, |v[47:48]|
	s_delay_alu instid0(VALU_DEP_3) | instskip(NEXT) | instid1(VALU_DEP_3)
	v_add_f64_e64 v[41:42], v[45:46], -v[41:42]
	v_add_f64_e32 v[32:33], v[32:33], v[43:44]
	v_fract_f64_e32 v[43:44], v[47:48]
	s_delay_alu instid0(VALU_DEP_1) | instskip(SKIP_1) | instid1(VALU_DEP_1)
	v_ldexp_f64 v[43:44], v[43:44], 2
	s_wait_alu 0xfffd
	v_cndmask_b32_e32 v44, 0, v44, vcc_lo
	v_mul_f64_e32 v[55:56], v[49:50], v[30:31]
	s_delay_alu instid0(VALU_DEP_3) | instskip(NEXT) | instid1(VALU_DEP_2)
	v_cndmask_b32_e32 v43, 0, v43, vcc_lo
	v_add_f64_e32 v[51:52], v[55:56], v[39:40]
	v_fma_f64 v[30:31], v[49:50], v[30:31], -v[55:56]
	s_delay_alu instid0(VALU_DEP_2) | instskip(NEXT) | instid1(VALU_DEP_1)
	v_add_f64_e32 v[45:46], v[51:52], v[32:33]
	v_add_f64_e32 v[47:48], v[41:42], v[45:46]
	s_delay_alu instid0(VALU_DEP_1) | instskip(SKIP_1) | instid1(VALU_DEP_2)
	v_add_f64_e32 v[53:54], v[47:48], v[43:44]
	v_add_f64_e64 v[41:42], v[47:48], -v[41:42]
	v_cmp_gt_f64_e32 vcc_lo, 0, v[53:54]
	v_add_f64_e64 v[53:54], v[51:52], -v[55:56]
	s_wait_alu 0xfffd
	v_cndmask_b32_e64 v58, 0, 0x40100000, vcc_lo
	s_delay_alu instid0(VALU_DEP_2) | instskip(SKIP_1) | instid1(VALU_DEP_3)
	v_add_f64_e64 v[62:63], v[51:52], -v[53:54]
	v_add_f64_e64 v[39:40], v[39:40], -v[53:54]
	v_add_f64_e32 v[43:44], v[43:44], v[57:58]
	v_add_f64_e64 v[58:59], v[45:46], -v[51:52]
	s_delay_alu instid0(VALU_DEP_4) | instskip(NEXT) | instid1(VALU_DEP_3)
	v_add_f64_e64 v[53:54], v[55:56], -v[62:63]
	v_add_f64_e32 v[60:61], v[47:48], v[43:44]
	s_delay_alu instid0(VALU_DEP_3) | instskip(SKIP_1) | instid1(VALU_DEP_4)
	v_add_f64_e64 v[64:65], v[45:46], -v[58:59]
	v_add_f64_e64 v[32:33], v[32:33], -v[58:59]
	v_add_f64_e32 v[39:40], v[39:40], v[53:54]
	s_delay_alu instid0(VALU_DEP_4) | instskip(NEXT) | instid1(VALU_DEP_4)
	v_cvt_i32_f64_e32 v60, v[60:61]
	v_add_f64_e64 v[51:52], v[51:52], -v[64:65]
	s_delay_alu instid0(VALU_DEP_2) | instskip(NEXT) | instid1(VALU_DEP_2)
	v_cvt_f64_i32_e32 v[58:59], v60
	v_add_f64_e32 v[32:33], v[32:33], v[51:52]
	s_delay_alu instid0(VALU_DEP_2) | instskip(NEXT) | instid1(VALU_DEP_2)
	v_add_f64_e64 v[43:44], v[43:44], -v[58:59]
	v_add_f64_e32 v[32:33], v[39:40], v[32:33]
	v_add_f64_e64 v[39:40], v[45:46], -v[41:42]
	s_delay_alu instid0(VALU_DEP_3) | instskip(NEXT) | instid1(VALU_DEP_3)
	v_add_f64_e32 v[49:50], v[47:48], v[43:44]
	v_add_f64_e32 v[30:31], v[30:31], v[32:33]
	s_delay_alu instid0(VALU_DEP_2) | instskip(SKIP_1) | instid1(VALU_DEP_3)
	v_add_f64_e64 v[32:33], v[49:50], -v[43:44]
	v_cmp_le_f64_e32 vcc_lo, 0.5, v[49:50]
	v_add_f64_e32 v[30:31], v[39:40], v[30:31]
	s_delay_alu instid0(VALU_DEP_3) | instskip(SKIP_3) | instid1(VALU_DEP_3)
	v_add_f64_e64 v[32:33], v[47:48], -v[32:33]
	s_wait_alu 0xfffd
	v_cndmask_b32_e64 v58, 0, 0x3ff00000, vcc_lo
	v_add_co_ci_u32_e64 v39, null, 0, v60, vcc_lo
	v_add_f64_e32 v[30:31], v[30:31], v[32:33]
	s_delay_alu instid0(VALU_DEP_3) | instskip(NEXT) | instid1(VALU_DEP_1)
	v_add_f64_e64 v[32:33], v[49:50], -v[57:58]
	v_add_f64_e32 v[40:41], v[32:33], v[30:31]
	s_wait_alu 0xfffe
	s_delay_alu instid0(VALU_DEP_1) | instskip(SKIP_1) | instid1(VALU_DEP_2)
	v_mul_f64_e32 v[42:43], s[4:5], v[40:41]
	v_add_f64_e64 v[32:33], v[40:41], -v[32:33]
	v_fma_f64 v[44:45], v[40:41], s[4:5], -v[42:43]
	s_delay_alu instid0(VALU_DEP_2) | instskip(NEXT) | instid1(VALU_DEP_2)
	v_add_f64_e64 v[30:31], v[30:31], -v[32:33]
	v_fma_f64 v[32:33], v[40:41], s[6:7], v[44:45]
	s_delay_alu instid0(VALU_DEP_1) | instskip(NEXT) | instid1(VALU_DEP_1)
	v_fma_f64 v[32:33], v[30:31], s[4:5], v[32:33]
	v_add_f64_e32 v[30:31], v[42:43], v[32:33]
	s_delay_alu instid0(VALU_DEP_1) | instskip(NEXT) | instid1(VALU_DEP_1)
	v_add_f64_e64 v[40:41], v[30:31], -v[42:43]
	v_add_f64_e64 v[32:33], v[32:33], -v[40:41]
.LBB0_23:
	s_wait_alu 0xfffe
	s_or_saveexec_b32 s2, s2
	s_load_b64 s[6:7], s[0:1], 0x8
	s_xor_b32 exec_lo, exec_lo, s2
	s_cbranch_execz .LBB0_25
; %bb.24:
	s_mov_b32 s0, 0x6dc9c883
	s_mov_b32 s1, 0x3fe45f30
	;; [unrolled: 1-line block ×3, first 2 shown]
	s_wait_alu 0xfffe
	v_mul_f64_e64 v[30:31], |v[4:5]|, s[0:1]
	s_mov_b32 s0, 0x54442d18
	s_mov_b32 s1, 0xbff921fb
	;; [unrolled: 1-line block ×3, first 2 shown]
	s_delay_alu instid0(VALU_DEP_1) | instskip(SKIP_1) | instid1(VALU_DEP_1)
	v_rndne_f64_e32 v[39:40], v[30:31]
	s_wait_alu 0xfffe
	v_fma_f64 v[30:31], v[39:40], s[0:1], |v[4:5]|
	v_mul_f64_e32 v[32:33], s[4:5], v[39:40]
	s_mov_b32 s0, 0x252049c0
	s_mov_b32 s1, 0xb97b839a
	s_delay_alu instid0(VALU_DEP_2) | instskip(NEXT) | instid1(VALU_DEP_2)
	v_fma_f64 v[43:44], v[39:40], s[4:5], v[30:31]
	v_add_f64_e32 v[41:42], v[30:31], v[32:33]
	s_mov_b32 s5, 0x3c91a626
	s_delay_alu instid0(VALU_DEP_1) | instskip(NEXT) | instid1(VALU_DEP_3)
	v_add_f64_e64 v[30:31], v[30:31], -v[41:42]
	v_add_f64_e64 v[41:42], v[41:42], -v[43:44]
	s_delay_alu instid0(VALU_DEP_2) | instskip(SKIP_2) | instid1(VALU_DEP_2)
	v_add_f64_e32 v[30:31], v[30:31], v[32:33]
	s_wait_alu 0xfffe
	v_fma_f64 v[32:33], v[39:40], s[4:5], v[32:33]
	v_add_f64_e32 v[30:31], v[41:42], v[30:31]
	s_delay_alu instid0(VALU_DEP_1) | instskip(NEXT) | instid1(VALU_DEP_1)
	v_add_f64_e64 v[30:31], v[30:31], -v[32:33]
	v_fma_f64 v[32:33], v[39:40], s[0:1], v[30:31]
	v_cvt_i32_f64_e32 v39, v[39:40]
	s_delay_alu instid0(VALU_DEP_2) | instskip(NEXT) | instid1(VALU_DEP_1)
	v_add_f64_e32 v[30:31], v[43:44], v[32:33]
	v_add_f64_e64 v[41:42], v[30:31], -v[43:44]
	s_delay_alu instid0(VALU_DEP_1)
	v_add_f64_e64 v[32:33], v[32:33], -v[41:42]
.LBB0_25:
	s_or_b32 exec_lo, exec_lo, s2
	v_mul_f64_e32 v[40:41], v[26:27], v[26:27]
	s_mov_b32 s0, 0x9037ab78
	s_mov_b32 s2, 0x46cc5e42
	s_mov_b32 s1, 0x3e21eeb6
	s_mov_b32 s3, 0xbda907db
	v_mul_f64_e32 v[46:47], v[6:7], v[6:7]
	s_mov_b32 s4, 0xb42fdfa7
	s_mov_b32 s8, 0xf9a43bb8
	s_mov_b32 s5, 0xbe5ae600
	s_mov_b32 s9, 0x3de5e0b2
	;; [unrolled: 5-line block ×3, first 2 shown]
	s_mov_b32 s12, 0x19f4ec90
	s_mov_b32 s13, 0x3efa01a0
	s_mov_b32 s18, 0x19e83e5c
	s_mov_b32 s19, 0xbf2a01a0
	s_mov_b32 s16, 0x16c16967
	s_mov_b32 s17, 0xbf56c16c
	s_mov_b32 s20, 0x11110bb3
	v_mul_f64_e32 v[72:73], v[22:23], v[22:23]
	s_mov_b32 s21, 0x3f811111
	v_mul_f64_e32 v[74:75], 0.5, v[28:29]
	v_mul_f64_e32 v[78:79], v[12:13], v[12:13]
	s_mov_b32 s22, 0x55555555
	s_mov_b32 s23, 0x3fa55555
	s_wait_alu 0xfffe
	v_fma_f64 v[42:43], v[40:41], s[2:3], s[0:1]
	v_mul_f64_e32 v[44:45], -0.5, v[40:41]
	v_fma_f64 v[48:49], v[40:41], s[8:9], s[4:5]
	v_mul_f64_e64 v[76:77], v[26:27], -v[40:41]
	v_mul_f64_e32 v[82:83], v[40:41], v[40:41]
	v_fma_f64 v[54:55], v[46:47], s[2:3], s[0:1]
	v_mul_f64_e32 v[56:57], -0.5, v[46:47]
	v_fma_f64 v[58:59], v[46:47], s[8:9], s[4:5]
	v_mul_f64_e64 v[86:87], v[6:7], -v[46:47]
	v_fma_f64 v[60:61], v[50:51], s[8:9], s[4:5]
	v_mul_f64_e32 v[62:63], -0.5, v[50:51]
	v_fma_f64 v[64:65], v[50:51], s[2:3], s[0:1]
	v_mul_f64_e64 v[92:93], v[30:31], -v[50:51]
	v_fma_f64 v[84:85], v[72:73], s[8:9], s[4:5]
	v_mul_f64_e32 v[88:89], -0.5, v[72:73]
	v_mul_f64_e32 v[90:91], -0.5, v[78:79]
	v_fma_f64 v[42:43], v[40:41], v[42:43], s[10:11]
	v_add_f64_e32 v[52:53], 1.0, v[44:45]
	v_fma_f64 v[48:49], v[40:41], v[48:49], s[14:15]
	v_fma_f64 v[54:55], v[46:47], v[54:55], s[10:11]
	v_add_f64_e32 v[68:69], 1.0, v[56:57]
	v_fma_f64 v[58:59], v[46:47], v[58:59], s[14:15]
	;; [unrolled: 3-line block ×3, first 2 shown]
	v_fma_f64 v[84:85], v[72:73], v[84:85], s[14:15]
	v_fma_f64 v[42:43], v[40:41], v[42:43], s[12:13]
	v_add_f64_e64 v[66:67], -v[52:53], 1.0
	v_fma_f64 v[48:49], v[40:41], v[48:49], s[18:19]
	v_fma_f64 v[54:55], v[46:47], v[54:55], s[12:13]
	;; [unrolled: 1-line block ×4, first 2 shown]
	v_add_f64_e64 v[80:81], -v[70:71], 1.0
	v_fma_f64 v[64:65], v[50:51], v[64:65], s[12:13]
	v_fma_f64 v[84:85], v[72:73], v[84:85], s[18:19]
	;; [unrolled: 1-line block ×3, first 2 shown]
	v_add_f64_e32 v[44:45], v[66:67], v[44:45]
	v_add_f64_e64 v[66:67], -v[68:69], 1.0
	v_fma_f64 v[48:49], v[40:41], v[48:49], s[20:21]
	v_fma_f64 v[54:55], v[46:47], v[54:55], s[16:17]
	;; [unrolled: 1-line block ×4, first 2 shown]
	v_add_f64_e32 v[62:63], v[80:81], v[62:63]
	v_fma_f64 v[80:81], v[78:79], s[8:9], s[4:5]
	v_fma_f64 v[64:65], v[50:51], v[64:65], s[16:17]
	;; [unrolled: 1-line block ×4, first 2 shown]
	v_fma_f64 v[44:45], v[26:27], -v[28:29], v[44:45]
	v_add_f64_e32 v[56:57], v[66:67], v[56:57]
	v_fma_f64 v[48:49], v[76:77], v[48:49], v[74:75]
	v_mul_f64_e32 v[66:67], 0.5, v[20:21]
	v_mul_f64_e32 v[74:75], 0.5, v[32:33]
	v_fma_f64 v[54:55], v[46:47], v[54:55], s[22:23]
	v_fma_f64 v[62:63], v[30:31], -v[32:33], v[62:63]
	v_fma_f64 v[80:81], v[78:79], v[80:81], s[14:15]
	v_fma_f64 v[64:65], v[50:51], v[64:65], s[22:23]
	;; [unrolled: 1-line block ×3, first 2 shown]
	v_mul_f64_e32 v[44:45], v[46:47], v[46:47]
	v_fma_f64 v[56:57], v[6:7], -v[20:21], v[56:57]
	v_mul_f64_e32 v[82:83], v[16:17], v[16:17]
	v_fma_f64 v[28:29], v[40:41], v[48:49], -v[28:29]
	v_fma_f64 v[40:41], v[72:73], s[2:3], s[0:1]
	v_fma_f64 v[58:59], v[86:87], v[58:59], v[66:67]
	v_add_f64_e32 v[66:67], 1.0, v[88:89]
	v_fma_f64 v[60:61], v[92:93], v[60:61], v[74:75]
	v_add_f64_e32 v[74:75], 1.0, v[90:91]
	v_mul_f64_e32 v[48:49], v[50:51], v[50:51]
	v_fma_f64 v[80:81], v[78:79], v[80:81], s[18:19]
	v_add_f64_e32 v[42:43], v[52:53], v[42:43]
	v_fma_f64 v[44:45], v[44:45], v[54:55], v[56:57]
	v_fma_f64 v[54:55], v[78:79], s[2:3], s[0:1]
	;; [unrolled: 1-line block ×4, first 2 shown]
	v_fma_f64 v[20:21], v[46:47], v[58:59], -v[20:21]
	v_add_f64_e64 v[46:47], -v[66:67], 1.0
	v_fma_f64 v[32:33], v[50:51], v[60:61], -v[32:33]
	v_add_f64_e64 v[58:59], -v[74:75], 1.0
	v_fma_f64 v[48:49], v[48:49], v[64:65], v[62:63]
	v_mul_f64_e32 v[62:63], 0.5, v[24:25]
	v_mul_f64_e64 v[64:65], v[22:23], -v[72:73]
	v_mul_f64_e32 v[50:51], -0.5, v[82:83]
	v_fma_f64 v[60:61], v[82:83], s[2:3], s[0:1]
	v_fma_f64 v[80:81], v[78:79], v[80:81], s[20:21]
	s_mov_b32 s9, 0xbfc55555
	s_mov_b32 s8, s22
	v_cmp_class_f64_e64 s2, v[2:3], 0x1f8
	s_wait_alu 0xfffe
	v_fma_f64 v[28:29], v[76:77], s[8:9], v[28:29]
	v_mul_f64_e64 v[76:77], v[16:17], -v[82:83]
	v_cmp_class_f64_e64 s4, v[4:5], 0x1f8
	v_lshlrev_b32_e32 v2, 30, v36
	v_lshlrev_b32_e32 v4, 30, v37
	v_cmp_class_f64_e64 s0, v[10:11], 0x1f8
	s_delay_alu instid0(VALU_DEP_3) | instskip(NEXT) | instid1(VALU_DEP_3)
	v_xor_b32_e32 v2, v2, v3
	v_xor_b32_e32 v3, v4, v3
	v_fma_f64 v[54:55], v[78:79], v[54:55], s[10:11]
	v_fma_f64 v[56:57], v[82:83], v[56:57], s[14:15]
	;; [unrolled: 1-line block ×4, first 2 shown]
	v_add_f64_e32 v[46:47], v[46:47], v[88:89]
	v_mul_f64_e32 v[88:89], 0.5, v[14:15]
	v_add_f64_e32 v[58:59], v[58:59], v[90:91]
	v_mul_f64_e64 v[90:91], v[12:13], -v[78:79]
	v_mul_f64_e32 v[86:87], v[78:79], v[78:79]
	v_fma_f64 v[62:63], v[64:65], v[84:85], v[62:63]
	v_add_f64_e32 v[84:85], 1.0, v[50:51]
	v_fma_f64 v[60:61], v[82:83], v[60:61], s[10:11]
	v_fma_f64 v[32:33], v[92:93], s[8:9], v[32:33]
	v_add_f64_e64 v[26:27], v[26:27], -v[28:29]
	v_add_f64_e32 v[28:29], v[68:69], v[44:45]
	v_fma_f64 v[54:55], v[78:79], v[54:55], s[12:13]
	v_fma_f64 v[56:57], v[82:83], v[56:57], s[18:19]
	v_fma_f64 v[40:41], v[72:73], v[40:41], s[16:17]
	v_add_f64_e64 v[6:7], v[6:7], -v[20:21]
	v_fma_f64 v[46:47], v[22:23], -v[24:25], v[46:47]
	v_add_f64_e32 v[20:21], v[70:71], v[48:49]
	v_fma_f64 v[58:59], v[12:13], -v[14:15], v[58:59]
	v_fma_f64 v[80:81], v[90:91], v[80:81], v[88:89]
	v_mul_f64_e32 v[88:89], 0.5, v[18:19]
	v_fma_f64 v[24:25], v[72:73], v[62:63], -v[24:25]
	v_add_f64_e64 v[62:63], -v[84:85], 1.0
	v_fma_f64 v[60:61], v[82:83], v[60:61], s[12:13]
	v_add_f64_e64 v[30:31], v[30:31], -v[32:33]
	v_mul_f64_e32 v[32:33], v[82:83], v[82:83]
	v_fma_f64 v[54:55], v[78:79], v[54:55], s[16:17]
	v_fma_f64 v[56:57], v[82:83], v[56:57], s[20:21]
	;; [unrolled: 1-line block ×3, first 2 shown]
	v_mul_f64_e32 v[72:73], v[72:73], v[72:73]
	v_fma_f64 v[14:15], v[78:79], v[80:81], -v[14:15]
	v_fma_f64 v[24:25], v[64:65], s[8:9], v[24:25]
	v_add_f64_e32 v[50:51], v[62:63], v[50:51]
	v_fma_f64 v[60:61], v[82:83], v[60:61], s[16:17]
	v_fma_f64 v[54:55], v[78:79], v[54:55], s[22:23]
	;; [unrolled: 1-line block ×5, first 2 shown]
	v_add_f64_e64 v[22:23], v[22:23], -v[24:25]
	v_and_b32_e32 v25, 1, v36
	v_fma_f64 v[44:45], v[82:83], v[60:61], s[22:23]
	v_fma_f64 v[46:47], v[16:17], -v[18:19], v[50:51]
	v_and_b32_e32 v36, 0x80000000, v2
	s_delay_alu instid0(VALU_DEP_4) | instskip(SKIP_1) | instid1(VALU_DEP_1)
	v_cmp_eq_u32_e64 s1, 0, v25
	s_wait_alu 0xf1ff
	v_cndmask_b32_e64 v25, v28, v6, s1
	v_lshlrev_b32_e32 v6, 30, v39
	v_cndmask_b32_e64 v7, v29, v7, s1
	v_fma_f64 v[48:49], v[86:87], v[54:55], v[58:59]
	v_fma_f64 v[18:19], v[82:83], v[56:57], -v[18:19]
	v_add_f64_e32 v[40:41], v[66:67], v[40:41]
	v_add_f64_e64 v[12:13], v[12:13], -v[14:15]
	v_lshlrev_b32_e32 v5, 30, v38
	v_xor_b32_e32 v14, 0x80000000, v31
	s_delay_alu instid0(VALU_DEP_2) | instskip(SKIP_3) | instid1(VALU_DEP_2)
	v_and_b32_e32 v28, 0x80000000, v5
	v_add_f64_e32 v[4:5], v[74:75], v[48:49]
	v_and_b32_e32 v50, 1, v39
	v_fma_f64 v[10:11], v[76:77], s[8:9], v[18:19]
	v_cmp_eq_u32_e64 s3, 0, v50
	s_wait_alu 0xf1ff
	s_delay_alu instid0(VALU_DEP_1) | instskip(SKIP_3) | instid1(VALU_DEP_1)
	v_cndmask_b32_e64 v20, v30, v20, s3
	v_and_b32_e32 v30, 0x80000000, v6
	v_xor_b32_e32 v6, 0x80000000, v27
	v_and_b32_e32 v24, 1, v38
	v_cmp_eq_u32_e32 vcc_lo, 0, v24
	s_wait_alu 0xfffd
	v_cndmask_b32_e32 v24, v26, v42, vcc_lo
	v_and_b32_e32 v26, 1, v37
	v_and_b32_e32 v37, 0x80000000, v3
	v_fma_f64 v[2:3], v[32:33], v[44:45], v[46:47]
	v_cndmask_b32_e32 v15, v6, v43, vcc_lo
	v_cndmask_b32_e64 v6, 0, v24, s0
	v_cmp_eq_u32_e64 s5, 0, v26
	s_delay_alu instid0(VALU_DEP_3) | instskip(SKIP_1) | instid1(VALU_DEP_2)
	v_xor_b32_e32 v15, v15, v28
	s_wait_alu 0xf1ff
	v_cndmask_b32_e64 v19, v40, v22, s5
	v_cndmask_b32_e64 v18, v41, v23, s5
	v_xor_b32_e32 v22, v7, v36
	v_cndmask_b32_e64 v7, v14, v21, s3
	v_cndmask_b32_e64 v14, 0, v25, s2
	v_add_f64_e64 v[10:11], v[16:17], -v[10:11]
	v_xor_b32_e32 v21, v18, v37
	v_cndmask_b32_e64 v18, 0, v20, s4
	v_xor_b32_e32 v23, v7, v30
	v_cndmask_b32_e64 v7, 0x7ff80000, v15, s0
	v_cndmask_b32_e64 v15, 0x7ff80000, v22, s2
	;; [unrolled: 1-line block ×5, first 2 shown]
	v_cmp_class_f64_e64 s0, v[0:1], 0x1f8
	v_and_b32_e32 v16, 1, v34
	v_lshlrev_b32_e32 v0, 30, v34
	v_mul_f64_e32 v[14:15], v[14:15], v[20:21]
	v_mul_f64_e32 v[6:7], v[6:7], v[18:19]
	s_mov_b32 s2, 0x9fea6a70
	v_cmp_eq_u32_e32 vcc_lo, 0, v16
	v_xor_b32_e32 v0, v0, v1
	s_mov_b32 s3, 0x3fa05985
	s_wait_alu 0xfffd
	v_cndmask_b32_e32 v4, v4, v12, vcc_lo
	v_lshlrev_b32_e32 v12, 30, v35
	v_dual_cndmask_b32 v5, v5, v13 :: v_dual_and_b32 v0, 0x80000000, v0
	v_add_f64_e32 v[2:3], v[84:85], v[2:3]
	s_delay_alu instid0(VALU_DEP_3) | instskip(NEXT) | instid1(VALU_DEP_3)
	v_xor_b32_e32 v1, v12, v1
	v_xor_b32_e32 v5, v5, v0
	s_delay_alu instid0(VALU_DEP_2) | instskip(SKIP_4) | instid1(VALU_DEP_1)
	v_and_b32_e32 v1, 0x80000000, v1
	s_wait_alu 0xf1ff
	v_cndmask_b32_e64 v0, 0, v4, s0
	v_mul_f64_e32 v[6:7], v[14:15], v[6:7]
	v_and_b32_e32 v14, 1, v35
	v_cmp_eq_u32_e64 s1, 0, v14
	s_wait_alu 0xf1ff
	s_delay_alu instid0(VALU_DEP_1) | instskip(SKIP_1) | instid1(VALU_DEP_2)
	v_cndmask_b32_e64 v3, v3, v11, s1
	v_cndmask_b32_e64 v2, v2, v10, s1
	v_xor_b32_e32 v3, v3, v1
	v_cndmask_b32_e64 v1, 0x7ff80000, v5, s0
	s_delay_alu instid0(VALU_DEP_3) | instskip(NEXT) | instid1(VALU_DEP_3)
	v_cndmask_b32_e64 v2, 0, v2, s0
	v_cndmask_b32_e64 v3, 0x7ff80000, v3, s0
	s_mov_b32 s0, 0x78a05eaf
	s_mov_b32 s1, 0xbf90a5a3
	s_delay_alu instid0(VALU_DEP_1) | instskip(NEXT) | instid1(VALU_DEP_1)
	v_fma_f64 v[0:1], v[0:1], v[2:3], v[6:7]
	v_cmp_gt_f64_e32 vcc_lo, 0x10000000, v[0:1]
	s_wait_alu 0xfffd
	v_cndmask_b32_e64 v2, 0, 0x100, vcc_lo
	s_delay_alu instid0(VALU_DEP_1) | instskip(NEXT) | instid1(VALU_DEP_1)
	v_ldexp_f64 v[0:1], v[0:1], v2
	v_rsq_f64_e32 v[2:3], v[0:1]
	s_delay_alu instid0(TRANS32_DEP_1) | instskip(SKIP_1) | instid1(VALU_DEP_1)
	v_mul_f64_e32 v[4:5], v[0:1], v[2:3]
	v_mul_f64_e32 v[2:3], 0.5, v[2:3]
	v_fma_f64 v[6:7], -v[2:3], v[4:5], 0.5
	s_delay_alu instid0(VALU_DEP_1) | instskip(SKIP_1) | instid1(VALU_DEP_2)
	v_fma_f64 v[4:5], v[4:5], v[6:7], v[4:5]
	v_fma_f64 v[2:3], v[2:3], v[6:7], v[2:3]
	v_fma_f64 v[6:7], -v[4:5], v[4:5], v[0:1]
	s_delay_alu instid0(VALU_DEP_1) | instskip(NEXT) | instid1(VALU_DEP_1)
	v_fma_f64 v[4:5], v[6:7], v[2:3], v[4:5]
	v_fma_f64 v[6:7], -v[4:5], v[4:5], v[0:1]
	s_delay_alu instid0(VALU_DEP_1) | instskip(SKIP_2) | instid1(VALU_DEP_2)
	v_fma_f64 v[2:3], v[6:7], v[2:3], v[4:5]
	v_cndmask_b32_e64 v4, 0, 0xffffff80, vcc_lo
	v_cmp_class_f64_e64 vcc_lo, v[0:1], 0x260
	v_ldexp_f64 v[2:3], v[2:3], v4
	s_wait_alu 0xfffd
	s_delay_alu instid0(VALU_DEP_1) | instskip(NEXT) | instid1(VALU_DEP_1)
	v_dual_cndmask_b32 v1, v3, v1 :: v_dual_cndmask_b32 v0, v2, v0
	v_fma_f64 v[2:3], |v[0:1]|, -0.5, 0.5
	v_mul_f64_e32 v[4:5], v[0:1], v[0:1]
	v_cmp_ge_f64_e64 vcc_lo, |v[0:1]|, 0.5
	s_wait_alu 0xfffd
	s_delay_alu instid0(VALU_DEP_2) | instskip(SKIP_1) | instid1(VALU_DEP_1)
	v_dual_cndmask_b32 v5, v5, v3 :: v_dual_cndmask_b32 v4, v4, v2
	s_wait_alu 0xfffe
	v_fma_f64 v[6:7], v[4:5], s[2:3], s[0:1]
	s_mov_b32 s0, 0x37024d6a
	s_mov_b32 s1, 0x3f940521
	s_wait_alu 0xfffe
	s_delay_alu instid0(VALU_DEP_1) | instskip(SKIP_3) | instid1(VALU_DEP_1)
	v_fma_f64 v[6:7], v[4:5], v[6:7], s[0:1]
	s_mov_b32 s0, 0x98a70509
	s_mov_b32 s1, 0x3f7ab3a0
	s_wait_alu 0xfffe
	v_fma_f64 v[6:7], v[4:5], v[6:7], s[0:1]
	s_mov_b32 s0, 0xa300c8d2
	s_mov_b32 s1, 0x3f88ed60
	s_wait_alu 0xfffe
	s_delay_alu instid0(VALU_DEP_1) | instskip(SKIP_3) | instid1(VALU_DEP_1)
	v_fma_f64 v[6:7], v[4:5], v[6:7], s[0:1]
	s_mov_b32 s0, 0x4b77012b
	s_mov_b32 s1, 0x3f8c6fa8
	;; [unrolled: 9-line block ×5, first 2 shown]
	s_wait_alu 0xfffe
	v_fma_f64 v[6:7], v[4:5], v[6:7], s[0:1]
	s_delay_alu instid0(VALU_DEP_1) | instskip(NEXT) | instid1(VALU_DEP_1)
	v_mul_f64_e32 v[4:5], v[4:5], v[6:7]
	v_fma_f64 v[6:7], |v[0:1]|, v[4:5], |v[0:1]|
	s_and_saveexec_b32 s0, vcc_lo
	s_cbranch_execz .LBB0_27
; %bb.26:
	v_rsq_f64_e32 v[6:7], v[2:3]
	v_cmp_eq_f64_e32 vcc_lo, 0, v[2:3]
	s_mov_b32 s2, 0x54442d18
	s_mov_b32 s3, 0x3fe921fb
	s_delay_alu instid0(TRANS32_DEP_1) | instskip(SKIP_1) | instid1(VALU_DEP_1)
	v_mul_f64_e32 v[10:11], v[2:3], v[6:7]
	v_mul_f64_e32 v[6:7], 0.5, v[6:7]
	v_fma_f64 v[12:13], -v[6:7], v[10:11], 0.5
	s_delay_alu instid0(VALU_DEP_1) | instskip(SKIP_1) | instid1(VALU_DEP_2)
	v_fma_f64 v[10:11], v[10:11], v[12:13], v[10:11]
	v_fma_f64 v[6:7], v[6:7], v[12:13], v[6:7]
	v_fma_f64 v[12:13], -v[10:11], v[10:11], v[2:3]
	s_delay_alu instid0(VALU_DEP_1) | instskip(SKIP_1) | instid1(VALU_DEP_1)
	v_fma_f64 v[6:7], v[12:13], v[6:7], v[10:11]
	s_wait_alu 0xfffd
	v_dual_cndmask_b32 v7, v7, v3 :: v_dual_cndmask_b32 v6, v6, v2
	s_delay_alu instid0(VALU_DEP_1) | instskip(SKIP_1) | instid1(VALU_DEP_2)
	v_add_f64_e32 v[10:11], v[6:7], v[6:7]
	v_mul_f64_e32 v[12:13], v[6:7], v[6:7]
	v_rcp_f64_e32 v[14:15], v[10:11]
	s_delay_alu instid0(VALU_DEP_1) | instskip(SKIP_1) | instid1(VALU_DEP_2)
	v_add_f64_e64 v[16:17], v[2:3], -v[12:13]
	v_fma_f64 v[20:21], v[6:7], v[6:7], -v[12:13]
	v_add_f64_e64 v[2:3], v[2:3], -v[16:17]
	s_delay_alu instid0(TRANS32_DEP_1) | instskip(NEXT) | instid1(VALU_DEP_2)
	v_fma_f64 v[18:19], -v[10:11], v[14:15], 1.0
	v_add_f64_e64 v[2:3], v[2:3], -v[12:13]
	s_delay_alu instid0(VALU_DEP_2) | instskip(NEXT) | instid1(VALU_DEP_2)
	v_fma_f64 v[12:13], v[18:19], v[14:15], v[14:15]
	v_add_f64_e64 v[2:3], v[2:3], -v[20:21]
	s_delay_alu instid0(VALU_DEP_2) | instskip(NEXT) | instid1(VALU_DEP_2)
	v_fma_f64 v[14:15], -v[10:11], v[12:13], 1.0
	v_add_f64_e32 v[2:3], v[16:17], v[2:3]
	s_delay_alu instid0(VALU_DEP_2) | instskip(NEXT) | instid1(VALU_DEP_1)
	v_fma_f64 v[12:13], v[14:15], v[12:13], v[12:13]
	v_mul_f64_e32 v[14:15], v[2:3], v[12:13]
	s_delay_alu instid0(VALU_DEP_1) | instskip(NEXT) | instid1(VALU_DEP_1)
	v_fma_f64 v[2:3], -v[10:11], v[14:15], v[2:3]
	v_fma_f64 v[2:3], v[2:3], v[12:13], v[14:15]
	s_delay_alu instid0(VALU_DEP_1) | instskip(NEXT) | instid1(VALU_DEP_2)
	v_cndmask_b32_e64 v3, v3, 0, vcc_lo
	v_cndmask_b32_e64 v2, v2, 0, vcc_lo
	v_cmp_neq_f64_e64 vcc_lo, |v[0:1]|, 1.0
	s_delay_alu instid0(VALU_DEP_2) | instskip(NEXT) | instid1(VALU_DEP_1)
	v_add_f64_e32 v[10:11], v[6:7], v[2:3]
	v_add_f64_e64 v[6:7], v[10:11], -v[6:7]
	v_mul_f64_e32 v[12:13], v[4:5], v[10:11]
	s_delay_alu instid0(VALU_DEP_2) | instskip(NEXT) | instid1(VALU_DEP_2)
	v_add_f64_e64 v[2:3], v[2:3], -v[6:7]
	v_fma_f64 v[6:7], v[10:11], v[4:5], -v[12:13]
	s_delay_alu instid0(VALU_DEP_1) | instskip(NEXT) | instid1(VALU_DEP_1)
	v_fma_f64 v[4:5], v[2:3], v[4:5], v[6:7]
	v_add_f64_e32 v[6:7], v[12:13], v[4:5]
	s_delay_alu instid0(VALU_DEP_1) | instskip(SKIP_1) | instid1(VALU_DEP_2)
	v_add_f64_e32 v[14:15], v[10:11], v[6:7]
	v_add_f64_e64 v[12:13], v[6:7], -v[12:13]
	v_add_f64_e64 v[10:11], v[14:15], -v[10:11]
	s_delay_alu instid0(VALU_DEP_2) | instskip(NEXT) | instid1(VALU_DEP_2)
	v_add_f64_e64 v[4:5], v[4:5], -v[12:13]
	v_add_f64_e64 v[6:7], v[6:7], -v[10:11]
	s_delay_alu instid0(VALU_DEP_2) | instskip(NEXT) | instid1(VALU_DEP_1)
	v_add_f64_e32 v[2:3], v[2:3], v[4:5]
	v_add_f64_e32 v[2:3], v[2:3], v[6:7]
	s_delay_alu instid0(VALU_DEP_1) | instskip(SKIP_1) | instid1(VALU_DEP_1)
	v_add_f64_e32 v[4:5], v[14:15], v[2:3]
	s_wait_alu 0xfffe
	v_add_f64_e64 v[6:7], -v[4:5], s[2:3]
	v_add_f64_e64 v[12:13], v[4:5], -v[14:15]
	s_delay_alu instid0(VALU_DEP_2) | instskip(SKIP_2) | instid1(VALU_DEP_2)
	v_add_f64_e64 v[10:11], -v[6:7], s[2:3]
	s_mov_b32 s2, 0x33145c07
	s_mov_b32 s3, 0x3c81a626
	v_add_f64_e64 v[2:3], v[12:13], -v[2:3]
	s_delay_alu instid0(VALU_DEP_2) | instskip(SKIP_1) | instid1(VALU_DEP_1)
	v_add_f64_e64 v[4:5], v[10:11], -v[4:5]
	s_wait_alu 0xfffe
	v_add_f64_e32 v[4:5], s[2:3], v[4:5]
	s_delay_alu instid0(VALU_DEP_1) | instskip(NEXT) | instid1(VALU_DEP_1)
	v_add_f64_e32 v[2:3], v[2:3], v[4:5]
	v_add_f64_e32 v[2:3], v[6:7], v[2:3]
	s_delay_alu instid0(VALU_DEP_1) | instskip(SKIP_1) | instid1(VALU_DEP_1)
	v_add_f64_e32 v[2:3], v[2:3], v[2:3]
	s_wait_alu 0xfffd
	v_cndmask_b32_e32 v7, 0x3ff921fb, v3, vcc_lo
	s_delay_alu instid0(VALU_DEP_2)
	v_cndmask_b32_e32 v6, 0x54442d18, v2, vcc_lo
.LBB0_27:
	s_wait_alu 0xfffe
	s_or_b32 exec_lo, exec_lo, s0
	s_delay_alu instid0(VALU_DEP_1) | instskip(SKIP_1) | instid1(VALU_DEP_2)
	v_bfi_b32 v7, 0x7fffffff, v7, v1
	v_lshlrev_b64_e32 v[2:3], 3, v[8:9]
	v_mul_f64_e32 v[0:1], 0x40c8e300, v[6:7]
	s_wait_kmcnt 0x0
	s_delay_alu instid0(VALU_DEP_2) | instskip(SKIP_1) | instid1(VALU_DEP_3)
	v_add_co_u32 v2, vcc_lo, s6, v2
	s_wait_alu 0xfffd
	v_add_co_ci_u32_e64 v3, null, s7, v3, vcc_lo
	global_store_b64 v[2:3], v[0:1], off
.LBB0_28:
	s_endpgm
	.section	.rodata,"a",@progbits
	.p2align	6, 0x0
	.amdhsa_kernel _Z26compute_haversine_distancePK15HIP_vector_typeIdLj4EEPdi
		.amdhsa_group_segment_fixed_size 0
		.amdhsa_private_segment_fixed_size 0
		.amdhsa_kernarg_size 280
		.amdhsa_user_sgpr_count 2
		.amdhsa_user_sgpr_dispatch_ptr 0
		.amdhsa_user_sgpr_queue_ptr 0
		.amdhsa_user_sgpr_kernarg_segment_ptr 1
		.amdhsa_user_sgpr_dispatch_id 0
		.amdhsa_user_sgpr_private_segment_size 0
		.amdhsa_wavefront_size32 1
		.amdhsa_uses_dynamic_stack 0
		.amdhsa_enable_private_segment 0
		.amdhsa_system_sgpr_workgroup_id_x 1
		.amdhsa_system_sgpr_workgroup_id_y 0
		.amdhsa_system_sgpr_workgroup_id_z 0
		.amdhsa_system_sgpr_workgroup_info 0
		.amdhsa_system_vgpr_workitem_id 0
		.amdhsa_next_free_vgpr 94
		.amdhsa_next_free_sgpr 24
		.amdhsa_reserve_vcc 1
		.amdhsa_float_round_mode_32 0
		.amdhsa_float_round_mode_16_64 0
		.amdhsa_float_denorm_mode_32 3
		.amdhsa_float_denorm_mode_16_64 3
		.amdhsa_fp16_overflow 0
		.amdhsa_workgroup_processor_mode 1
		.amdhsa_memory_ordered 1
		.amdhsa_forward_progress 1
		.amdhsa_inst_pref_size 70
		.amdhsa_round_robin_scheduling 0
		.amdhsa_exception_fp_ieee_invalid_op 0
		.amdhsa_exception_fp_denorm_src 0
		.amdhsa_exception_fp_ieee_div_zero 0
		.amdhsa_exception_fp_ieee_overflow 0
		.amdhsa_exception_fp_ieee_underflow 0
		.amdhsa_exception_fp_ieee_inexact 0
		.amdhsa_exception_int_div_zero 0
	.end_amdhsa_kernel
	.text
.Lfunc_end0:
	.size	_Z26compute_haversine_distancePK15HIP_vector_typeIdLj4EEPdi, .Lfunc_end0-_Z26compute_haversine_distancePK15HIP_vector_typeIdLj4EEPdi
                                        ; -- End function
	.set _Z26compute_haversine_distancePK15HIP_vector_typeIdLj4EEPdi.num_vgpr, 94
	.set _Z26compute_haversine_distancePK15HIP_vector_typeIdLj4EEPdi.num_agpr, 0
	.set _Z26compute_haversine_distancePK15HIP_vector_typeIdLj4EEPdi.numbered_sgpr, 24
	.set _Z26compute_haversine_distancePK15HIP_vector_typeIdLj4EEPdi.num_named_barrier, 0
	.set _Z26compute_haversine_distancePK15HIP_vector_typeIdLj4EEPdi.private_seg_size, 0
	.set _Z26compute_haversine_distancePK15HIP_vector_typeIdLj4EEPdi.uses_vcc, 1
	.set _Z26compute_haversine_distancePK15HIP_vector_typeIdLj4EEPdi.uses_flat_scratch, 0
	.set _Z26compute_haversine_distancePK15HIP_vector_typeIdLj4EEPdi.has_dyn_sized_stack, 0
	.set _Z26compute_haversine_distancePK15HIP_vector_typeIdLj4EEPdi.has_recursion, 0
	.set _Z26compute_haversine_distancePK15HIP_vector_typeIdLj4EEPdi.has_indirect_call, 0
	.section	.AMDGPU.csdata,"",@progbits
; Kernel info:
; codeLenInByte = 8892
; TotalNumSgprs: 26
; NumVgprs: 94
; ScratchSize: 0
; MemoryBound: 0
; FloatMode: 240
; IeeeMode: 1
; LDSByteSize: 0 bytes/workgroup (compile time only)
; SGPRBlocks: 0
; VGPRBlocks: 11
; NumSGPRsForWavesPerEU: 26
; NumVGPRsForWavesPerEU: 94
; Occupancy: 16
; WaveLimiterHint : 0
; COMPUTE_PGM_RSRC2:SCRATCH_EN: 0
; COMPUTE_PGM_RSRC2:USER_SGPR: 2
; COMPUTE_PGM_RSRC2:TRAP_HANDLER: 0
; COMPUTE_PGM_RSRC2:TGID_X_EN: 1
; COMPUTE_PGM_RSRC2:TGID_Y_EN: 0
; COMPUTE_PGM_RSRC2:TGID_Z_EN: 0
; COMPUTE_PGM_RSRC2:TIDIG_COMP_CNT: 0
	.text
	.p2alignl 7, 3214868480
	.fill 96, 4, 3214868480
	.section	.AMDGPU.gpr_maximums,"",@progbits
	.set amdgpu.max_num_vgpr, 0
	.set amdgpu.max_num_agpr, 0
	.set amdgpu.max_num_sgpr, 0
	.text
	.type	__hip_cuid_4cd8604a0414f451,@object ; @__hip_cuid_4cd8604a0414f451
	.section	.bss,"aw",@nobits
	.globl	__hip_cuid_4cd8604a0414f451
__hip_cuid_4cd8604a0414f451:
	.byte	0                               ; 0x0
	.size	__hip_cuid_4cd8604a0414f451, 1

	.ident	"AMD clang version 22.0.0git (https://github.com/RadeonOpenCompute/llvm-project roc-7.2.4 26084 f58b06dce1f9c15707c5f808fd002e18c2accf7e)"
	.section	".note.GNU-stack","",@progbits
	.addrsig
	.addrsig_sym __hip_cuid_4cd8604a0414f451
	.amdgpu_metadata
---
amdhsa.kernels:
  - .args:
      - .actual_access:  read_only
        .address_space:  global
        .offset:         0
        .size:           8
        .value_kind:     global_buffer
      - .actual_access:  write_only
        .address_space:  global
        .offset:         8
        .size:           8
        .value_kind:     global_buffer
      - .offset:         16
        .size:           4
        .value_kind:     by_value
      - .offset:         24
        .size:           4
        .value_kind:     hidden_block_count_x
      - .offset:         28
        .size:           4
        .value_kind:     hidden_block_count_y
      - .offset:         32
        .size:           4
        .value_kind:     hidden_block_count_z
      - .offset:         36
        .size:           2
        .value_kind:     hidden_group_size_x
      - .offset:         38
        .size:           2
        .value_kind:     hidden_group_size_y
      - .offset:         40
        .size:           2
        .value_kind:     hidden_group_size_z
      - .offset:         42
        .size:           2
        .value_kind:     hidden_remainder_x
      - .offset:         44
        .size:           2
        .value_kind:     hidden_remainder_y
      - .offset:         46
        .size:           2
        .value_kind:     hidden_remainder_z
      - .offset:         64
        .size:           8
        .value_kind:     hidden_global_offset_x
      - .offset:         72
        .size:           8
        .value_kind:     hidden_global_offset_y
      - .offset:         80
        .size:           8
        .value_kind:     hidden_global_offset_z
      - .offset:         88
        .size:           2
        .value_kind:     hidden_grid_dims
    .group_segment_fixed_size: 0
    .kernarg_segment_align: 8
    .kernarg_segment_size: 280
    .language:       OpenCL C
    .language_version:
      - 2
      - 0
    .max_flat_workgroup_size: 1024
    .name:           _Z26compute_haversine_distancePK15HIP_vector_typeIdLj4EEPdi
    .private_segment_fixed_size: 0
    .sgpr_count:     26
    .sgpr_spill_count: 0
    .symbol:         _Z26compute_haversine_distancePK15HIP_vector_typeIdLj4EEPdi.kd
    .uniform_work_group_size: 1
    .uses_dynamic_stack: false
    .vgpr_count:     94
    .vgpr_spill_count: 0
    .wavefront_size: 32
    .workgroup_processor_mode: 1
amdhsa.target:   amdgcn-amd-amdhsa--gfx1201
amdhsa.version:
  - 1
  - 2
...

	.end_amdgpu_metadata
